;; amdgpu-corpus repo=ROCm/rocFFT kind=compiled arch=gfx1030 opt=O3
	.text
	.amdgcn_target "amdgcn-amd-amdhsa--gfx1030"
	.amdhsa_code_object_version 6
	.protected	bluestein_single_back_len2028_dim1_sp_op_CI_CI ; -- Begin function bluestein_single_back_len2028_dim1_sp_op_CI_CI
	.globl	bluestein_single_back_len2028_dim1_sp_op_CI_CI
	.p2align	8
	.type	bluestein_single_back_len2028_dim1_sp_op_CI_CI,@function
bluestein_single_back_len2028_dim1_sp_op_CI_CI: ; @bluestein_single_back_len2028_dim1_sp_op_CI_CI
; %bb.0:
	s_load_dwordx4 s[12:15], s[4:5], 0x28
	v_mul_u32_u24_e32 v1, 0x1a5, v0
	v_mov_b32_e32 v91, 0
	s_mov_b32 s0, exec_lo
	v_lshrrev_b32_e32 v1, 16, v1
	v_add_nc_u32_e32 v90, s6, v1
	s_waitcnt lgkmcnt(0)
	v_cmpx_gt_u64_e64 s[12:13], v[90:91]
	s_cbranch_execz .LBB0_18
; %bb.1:
	s_clause 0x1
	s_load_dwordx4 s[8:11], s[4:5], 0x18
	s_load_dwordx4 s[0:3], s[4:5], 0x0
	v_mul_lo_u16 v1, 0x9c, v1
	s_load_dwordx2 s[4:5], s[4:5], 0x38
	v_sub_nc_u16 v42, v0, v1
	v_and_b32_e32 v128, 0xffff, v42
	v_lshlrev_b32_e32 v127, 3, v128
	s_waitcnt lgkmcnt(0)
	s_load_dwordx4 s[16:19], s[8:9], 0x0
	s_clause 0x1
	global_load_dwordx2 v[99:100], v127, s[0:1]
	global_load_dwordx2 v[97:98], v127, s[0:1] offset:1248
	v_add_co_u32 v68, s6, s0, v127
	v_add_co_ci_u32_e64 v69, null, s1, 0, s6
	v_add_nc_u32_e32 v32, 0x1200, v127
	v_add_co_u32 v0, vcc_lo, 0x800, v68
	v_add_co_ci_u32_e32 v1, vcc_lo, 0, v69, vcc_lo
	v_add_co_u32 v2, vcc_lo, 0x1000, v68
	v_add_co_ci_u32_e32 v3, vcc_lo, 0, v69, vcc_lo
	;; [unrolled: 2-line block ×3, first 2 shown]
	s_waitcnt lgkmcnt(0)
	v_mad_u64_u32 v[6:7], null, s18, v90, 0
	v_mad_u64_u32 v[8:9], null, s16, v128, 0
	v_add_co_u32 v10, vcc_lo, 0x2000, v68
	v_add_co_ci_u32_e32 v11, vcc_lo, 0, v69, vcc_lo
	v_add_co_u32 v12, vcc_lo, 0x2800, v68
	v_mad_u64_u32 v[16:17], null, s19, v90, v[7:8]
	v_mad_u64_u32 v[17:18], null, s17, v128, v[9:10]
	v_add_co_ci_u32_e32 v13, vcc_lo, 0, v69, vcc_lo
	v_add_co_u32 v14, vcc_lo, 0x3000, v68
	v_mov_b32_e32 v7, v16
	s_clause 0x1
	global_load_dwordx2 v[109:110], v[0:1], off offset:448
	global_load_dwordx2 v[107:108], v[0:1], off offset:1696
	v_mov_b32_e32 v9, v17
	v_add_co_ci_u32_e32 v15, vcc_lo, 0, v69, vcc_lo
	v_lshlrev_b64 v[0:1], 3, v[6:7]
	v_add_co_u32 v60, vcc_lo, 0x3800, v68
	v_add_co_ci_u32_e32 v61, vcc_lo, 0, v69, vcc_lo
	s_clause 0x2
	global_load_dwordx2 v[105:106], v[2:3], off offset:896
	global_load_dwordx2 v[103:104], v[4:5], off offset:96
	;; [unrolled: 1-line block ×3, first 2 shown]
	v_lshlrev_b64 v[2:3], 3, v[8:9]
	v_add_co_u32 v0, vcc_lo, s14, v0
	v_add_co_ci_u32_e32 v1, vcc_lo, s15, v1, vcc_lo
	s_mul_i32 s0, s17, 0x4e0
	v_add_co_u32 v0, vcc_lo, v0, v2
	v_add_co_ci_u32_e32 v1, vcc_lo, v1, v3, vcc_lo
	s_mul_hi_u32 s1, s16, 0x4e0
	s_mul_i32 s6, s16, 0x4e0
	s_add_i32 s1, s1, s0
	v_add_co_u32 v2, vcc_lo, v0, s6
	v_add_co_ci_u32_e32 v3, vcc_lo, s1, v1, vcc_lo
	s_clause 0x1
	global_load_dwordx2 v[95:96], v[10:11], off offset:544
	global_load_dwordx2 v[86:87], v[10:11], off offset:1792
	v_add_co_u32 v4, vcc_lo, v2, s6
	v_add_co_ci_u32_e32 v5, vcc_lo, s1, v3, vcc_lo
	s_clause 0x1
	global_load_dwordx2 v[88:89], v[12:13], off offset:992
	global_load_dwordx2 v[84:85], v[14:15], off offset:192
	v_add_co_u32 v6, vcc_lo, v4, s6
	v_add_co_ci_u32_e32 v7, vcc_lo, s1, v5, vcc_lo
	global_load_dwordx2 v[0:1], v[0:1], off
	v_add_co_u32 v8, vcc_lo, v6, s6
	v_add_co_ci_u32_e32 v9, vcc_lo, s1, v7, vcc_lo
	s_clause 0x1
	global_load_dwordx2 v[2:3], v[2:3], off
	global_load_dwordx2 v[4:5], v[4:5], off
	v_add_co_u32 v10, vcc_lo, v8, s6
	v_add_co_ci_u32_e32 v11, vcc_lo, s1, v9, vcc_lo
	s_clause 0x1
	global_load_dwordx2 v[6:7], v[6:7], off
	global_load_dwordx2 v[8:9], v[8:9], off
	v_add_co_u32 v12, vcc_lo, v10, s6
	v_add_co_ci_u32_e32 v13, vcc_lo, s1, v11, vcc_lo
	global_load_dwordx2 v[10:11], v[10:11], off
	v_add_co_u32 v16, vcc_lo, v12, s6
	v_add_co_ci_u32_e32 v17, vcc_lo, s1, v13, vcc_lo
	;; [unrolled: 3-line block ×7, first 2 shown]
	global_load_dwordx2 v[91:92], v[14:15], off offset:1440
	global_load_dwordx2 v[14:15], v[24:25], off
	global_load_dwordx2 v[93:94], v[60:61], off offset:640
	global_load_dwordx2 v[24:25], v[22:23], off
	v_add_nc_u32_e32 v22, 0x800, v127
	v_add_nc_u32_e32 v23, 0x1c00, v127
	;; [unrolled: 1-line block ×4, first 2 shown]
	s_load_dwordx4 s[8:11], s[10:11], 0x0
	v_cmp_gt_u16_e32 vcc_lo, 39, v42
	s_waitcnt vmcnt(14)
	v_mul_f32_e32 v28, v1, v100
	v_mul_f32_e32 v29, v0, v100
	s_waitcnt vmcnt(13)
	v_mul_f32_e32 v30, v3, v98
	v_fmac_f32_e32 v28, v0, v99
	v_fma_f32 v29, v1, v99, -v29
	v_mul_f32_e32 v1, v2, v98
	s_waitcnt vmcnt(12)
	v_mul_f32_e32 v0, v5, v110
	v_fmac_f32_e32 v30, v2, v97
	v_mul_f32_e32 v35, v4, v110
	s_waitcnt vmcnt(11)
	v_mul_f32_e32 v2, v7, v108
	v_mul_f32_e32 v36, v6, v108
	v_fma_f32 v31, v3, v97, -v1
	v_fmac_f32_e32 v0, v4, v109
	v_fma_f32 v1, v5, v109, -v35
	v_fmac_f32_e32 v2, v6, v107
	v_fma_f32 v3, v7, v107, -v36
	s_waitcnt vmcnt(10)
	v_mul_f32_e32 v5, v8, v106
	v_mul_f32_e32 v4, v9, v106
	ds_write2_b64 v127, v[28:29], v[30:31] offset1:156
	s_waitcnt vmcnt(9)
	v_mul_f32_e32 v6, v11, v104
	ds_write2_b64 v22, v[0:1], v[2:3] offset0:56 offset1:212
	v_fma_f32 v5, v9, v105, -v5
	v_mul_f32_e32 v1, v10, v104
	s_waitcnt vmcnt(8)
	v_mul_f32_e32 v3, v12, v102
	s_waitcnt vmcnt(7)
	v_mul_f32_e32 v9, v16, v96
	v_mul_f32_e32 v0, v13, v102
	;; [unrolled: 1-line block ×3, first 2 shown]
	v_fmac_f32_e32 v4, v8, v105
	v_fma_f32 v7, v11, v103, -v1
	v_fma_f32 v1, v13, v101, -v3
	s_waitcnt vmcnt(6)
	v_mul_f32_e32 v8, v19, v87
	v_fma_f32 v3, v17, v95, -v9
	v_mul_f32_e32 v9, v18, v87
	v_fmac_f32_e32 v6, v10, v103
	s_waitcnt vmcnt(5)
	v_mul_f32_e32 v10, v21, v89
	v_mul_f32_e32 v11, v20, v89
	v_fmac_f32_e32 v0, v12, v101
	v_fmac_f32_e32 v2, v16, v95
	s_waitcnt vmcnt(4)
	v_mul_f32_e32 v12, v27, v85
	v_mul_f32_e32 v13, v26, v85
	v_fmac_f32_e32 v8, v18, v86
	s_waitcnt vmcnt(2)
	v_mul_f32_e32 v16, v15, v92
	v_mul_f32_e32 v17, v14, v92
	v_fma_f32 v9, v19, v86, -v9
	s_waitcnt vmcnt(0)
	v_mul_f32_e32 v18, v25, v94
	v_mul_f32_e32 v19, v24, v94
	v_fmac_f32_e32 v10, v20, v88
	v_fma_f32 v11, v21, v88, -v11
	v_fmac_f32_e32 v12, v26, v84
	v_fma_f32 v13, v27, v84, -v13
	;; [unrolled: 2-line block ×4, first 2 shown]
	ds_write2_b64 v32, v[4:5], v[6:7] offset0:48 offset1:204
	ds_write2_b64 v23, v[0:1], v[2:3] offset0:40 offset1:196
	;; [unrolled: 1-line block ×4, first 2 shown]
	ds_write_b64 v127, v[18:19] offset:14976
	s_waitcnt lgkmcnt(0)
	s_barrier
	buffer_gl0_inv
	ds_read2_b64 v[8:11], v127 offset1:156
	ds_read_b64 v[20:21], v127 offset:14976
	ds_read2_b64 v[16:19], v22 offset0:56 offset1:212
	ds_read2_b64 v[0:3], v34 offset0:24 offset1:180
	;; [unrolled: 1-line block ×5, first 2 shown]
	s_waitcnt lgkmcnt(0)
	s_barrier
	buffer_gl0_inv
	v_add_f32_e32 v28, v9, v11
	v_add_f32_e32 v27, v8, v10
	;; [unrolled: 1-line block ×3, first 2 shown]
	v_sub_f32_e32 v11, v11, v21
	v_add_f32_e32 v32, v3, v17
	v_sub_f32_e32 v34, v17, v3
	v_add_f32_e32 v17, v28, v17
	v_add_f32_e32 v29, v20, v10
	v_sub_f32_e32 v10, v10, v20
	v_add_f32_e32 v31, v2, v16
	v_sub_f32_e32 v33, v16, v2
	v_add_f32_e32 v16, v27, v16
	v_mul_f32_e32 v27, 0xbeedf032, v11
	v_mul_f32_e32 v48, 0xbf52af12, v11
	;; [unrolled: 1-line block ×6, first 2 shown]
	v_add_f32_e32 v17, v17, v19
	v_add_f32_e32 v35, v0, v18
	v_sub_f32_e32 v37, v18, v0
	v_add_f32_e32 v40, v7, v13
	v_sub_f32_e32 v43, v13, v7
	v_mul_f32_e32 v28, 0xbeedf032, v10
	v_mul_f32_e32 v49, 0xbf52af12, v10
	;; [unrolled: 1-line block ×6, first 2 shown]
	v_add_f32_e32 v16, v16, v18
	v_fma_f32 v18, 0x3f62ad3f, v29, -v27
	v_fmac_f32_e32 v27, 0x3f62ad3f, v29
	v_fma_f32 v129, 0x3f116cb1, v29, -v48
	v_fmac_f32_e32 v48, 0x3f116cb1, v29
	;; [unrolled: 2-line block ×6, first 2 shown]
	v_add_f32_e32 v13, v17, v13
	v_add_f32_e32 v36, v1, v19
	v_sub_f32_e32 v38, v19, v1
	v_add_f32_e32 v39, v6, v12
	v_sub_f32_e32 v41, v12, v6
	v_fmamk_f32 v19, v30, 0x3f62ad3f, v28
	v_fma_f32 v28, 0x3f62ad3f, v30, -v28
	v_fmamk_f32 v130, v30, 0x3f116cb1, v49
	v_fma_f32 v49, 0x3f116cb1, v30, -v49
	v_fmamk_f32 v132, v30, 0x3df6dbef, v51
	v_fma_f32 v51, 0x3df6dbef, v30, -v51
	v_fmamk_f32 v134, v30, 0xbeb58ec6, v53
	v_fma_f32 v53, 0xbeb58ec6, v30, -v53
	v_fmamk_f32 v136, v30, 0xbf3f9e67, v55
	v_fma_f32 v55, 0xbf3f9e67, v30, -v55
	v_fmamk_f32 v29, v30, 0xbf788fa5, v10
	v_fma_f32 v10, 0xbf788fa5, v30, -v10
	v_add_f32_e32 v18, v8, v18
	v_add_f32_e32 v27, v8, v27
	;; [unrolled: 1-line block ×29, first 2 shown]
	v_sub_f32_e32 v47, v15, v5
	v_mul_f32_e32 v56, 0xbf52af12, v34
	v_add_f32_e32 v10, v10, v23
	v_add_f32_e32 v11, v11, v26
	v_mul_f32_e32 v57, 0xbf6f5d39, v34
	v_mul_f32_e32 v58, 0xbe750f2a, v34
	;; [unrolled: 1-line block ×11, first 2 shown]
	v_add_f32_e32 v10, v10, v25
	v_add_f32_e32 v5, v11, v5
	;; [unrolled: 1-line block ×3, first 2 shown]
	v_sub_f32_e32 v46, v14, v4
	v_mul_f32_e32 v70, 0xbf7e222b, v38
	v_mul_f32_e32 v71, 0xbe750f2a, v38
	;; [unrolled: 1-line block ×12, first 2 shown]
	v_fma_f32 v30, 0x3f116cb1, v31, -v56
	v_fmac_f32_e32 v56, 0x3f116cb1, v31
	v_fma_f32 v138, 0xbeb58ec6, v31, -v57
	v_fmac_f32_e32 v57, 0xbeb58ec6, v31
	;; [unrolled: 2-line block ×6, first 2 shown]
	v_fmamk_f32 v31, v32, 0x3f116cb1, v63
	v_fma_f32 v63, 0x3f116cb1, v32, -v63
	v_fmamk_f32 v144, v32, 0xbf788fa5, v65
	v_fma_f32 v65, 0xbf788fa5, v32, -v65
	v_fmamk_f32 v145, v32, 0xbf3f9e67, v66
	v_fma_f32 v66, 0xbf3f9e67, v32, -v66
	v_fmamk_f32 v146, v32, 0x3df6dbef, v67
	v_fma_f32 v67, 0x3df6dbef, v32, -v67
	v_fmamk_f32 v147, v32, 0x3f62ad3f, v33
	v_add_f32_e32 v4, v10, v4
	v_add_f32_e32 v5, v5, v7
	v_mul_f32_e32 v80, 0xbf6f5d39, v43
	v_mul_f32_e32 v81, 0x3f29c268, v43
	;; [unrolled: 1-line block ×12, first 2 shown]
	v_fmamk_f32 v143, v32, 0xbeb58ec6, v64
	v_fma_f32 v64, 0xbeb58ec6, v32, -v64
	v_fma_f32 v32, 0x3f62ad3f, v32, -v33
	;; [unrolled: 1-line block ×3, first 2 shown]
	v_fmac_f32_e32 v70, 0x3df6dbef, v35
	v_fma_f32 v148, 0xbf788fa5, v35, -v71
	v_fmac_f32_e32 v71, 0xbf788fa5, v35
	v_fma_f32 v149, 0xbeb58ec6, v35, -v72
	;; [unrolled: 2-line block ×5, first 2 shown]
	v_fmac_f32_e32 v38, 0xbf3f9e67, v35
	v_fmamk_f32 v35, v36, 0x3df6dbef, v75
	v_fmamk_f32 v155, v36, 0x3f62ad3f, v78
	v_fma_f32 v78, 0x3f62ad3f, v36, -v78
	v_fmamk_f32 v156, v36, 0x3f116cb1, v79
	v_fma_f32 v79, 0x3f116cb1, v36, -v79
	v_fmamk_f32 v157, v36, 0xbf3f9e67, v37
	v_add_f32_e32 v12, v30, v18
	v_add_f32_e32 v13, v31, v19
	;; [unrolled: 1-line block ×16, first 2 shown]
	v_mul_f32_e32 v118, 0xbf29c268, v46
	v_mul_f32_e32 v119, 0x3f7e222b, v47
	;; [unrolled: 1-line block ×10, first 2 shown]
	v_fma_f32 v75, 0x3df6dbef, v36, -v75
	v_fmamk_f32 v153, v36, 0xbf788fa5, v76
	v_fma_f32 v76, 0xbf788fa5, v36, -v76
	v_fmamk_f32 v154, v36, 0xbeb58ec6, v77
	v_fma_f32 v77, 0xbeb58ec6, v36, -v77
	v_fma_f32 v36, 0xbf3f9e67, v36, -v37
	;; [unrolled: 1-line block ×3, first 2 shown]
	v_fmac_f32_e32 v80, 0xbeb58ec6, v39
	v_fma_f32 v158, 0xbf3f9e67, v39, -v81
	v_fmac_f32_e32 v81, 0xbf3f9e67, v39
	v_fma_f32 v159, 0x3f62ad3f, v39, -v82
	;; [unrolled: 2-line block ×5, first 2 shown]
	v_fmac_f32_e32 v43, 0x3f116cb1, v39
	v_fmamk_f32 v39, v40, 0xbeb58ec6, v112
	v_fmamk_f32 v166, v40, 0xbf788fa5, v116
	v_fma_f32 v116, 0xbf788fa5, v40, -v116
	v_fmamk_f32 v167, v40, 0x3f116cb1, v41
	v_add_f32_e32 v14, v56, v27
	v_add_f32_e32 v27, v64, v49
	;; [unrolled: 1-line block ×21, first 2 shown]
	v_mul_f32_e32 v117, 0xbf29c268, v47
	v_mul_f32_e32 v47, 0xbf6f5d39, v47
	v_fmamk_f32 v163, v40, 0xbf3f9e67, v113
	v_fma_f32 v113, 0xbf3f9e67, v40, -v113
	v_fmamk_f32 v164, v40, 0x3f62ad3f, v114
	v_fma_f32 v114, 0x3f62ad3f, v40, -v114
	;; [unrolled: 2-line block ×3, first 2 shown]
	v_fma_f32 v169, 0x3df6dbef, v44, -v119
	v_fmac_f32_e32 v119, 0x3df6dbef, v44
	v_fma_f32 v171, 0x3f116cb1, v44, -v121
	v_fmac_f32_e32 v121, 0x3f116cb1, v44
	;; [unrolled: 2-line block ×4, first 2 shown]
	v_add_f32_e32 v12, v33, v12
	v_add_f32_e32 v27, v76, v27
	;; [unrolled: 1-line block ×21, first 2 shown]
	v_fma_f32 v2, 0x3f62ad3f, v45, -v126
	v_fmamk_f32 v4, v45, 0xbeb58ec6, v46
	v_sub_f32_e32 v21, v24, v26
	v_add_f32_e32 v17, v138, v129
	v_fma_f32 v112, 0xbeb58ec6, v40, -v112
	v_fma_f32 v40, 0x3f116cb1, v40, -v41
	;; [unrolled: 1-line block ×3, first 2 shown]
	v_fmamk_f32 v170, v45, 0x3df6dbef, v120
	v_fma_f32 v120, 0x3df6dbef, v45, -v120
	v_fmamk_f32 v172, v45, 0x3f116cb1, v122
	v_fma_f32 v122, 0x3f116cb1, v45, -v122
	;; [unrolled: 2-line block ×3, first 2 shown]
	v_fmamk_f32 v176, v45, 0x3f62ad3f, v126
	v_add_f32_e32 v18, v143, v130
	v_add_f32_e32 v15, v75, v15
	;; [unrolled: 1-line block ×17, first 2 shown]
	v_fma_f32 v3, 0xbeb58ec6, v44, -v47
	v_add_f32_e32 v20, v125, v38
	v_add_f32_e32 v36, v2, v39
	;; [unrolled: 1-line block ×4, first 2 shown]
	v_mul_f32_e32 v4, 0xbe750f2a, v21
	v_sub_f32_e32 v23, v23, v25
	v_add_f32_e32 v14, v70, v14
	v_add_f32_e32 v17, v148, v17
	v_fmamk_f32 v168, v45, 0xbf3f9e67, v118
	v_fma_f32 v118, 0xbf3f9e67, v45, -v118
	v_add_f32_e32 v18, v153, v18
	v_add_f32_e32 v15, v112, v15
	;; [unrolled: 1-line block ×12, first 2 shown]
	v_fmac_f32_e32 v47, 0xbeb58ec6, v44
	v_fma_f32 v2, 0xbeb58ec6, v45, -v46
	v_add_f32_e32 v24, v26, v24
	v_fma_f32 v3, 0xbf788fa5, v39, -v4
	v_mul_f32_e32 v5, 0xbe750f2a, v23
	v_fmac_f32_e32 v117, 0xbf3f9e67, v44
	v_add_f32_e32 v14, v80, v14
	v_add_f32_e32 v17, v158, v17
	v_mul_f32_e32 v6, 0x3eedf032, v21
	v_add_f32_e32 v18, v163, v18
	v_add_f32_e32 v15, v118, v15
	;; [unrolled: 1-line block ×5, first 2 shown]
	v_fmamk_f32 v3, v24, 0xbf788fa5, v5
	v_fma_f32 v5, 0xbf788fa5, v24, -v5
	v_mul_f32_e32 v8, 0x3eedf032, v23
	v_add_f32_e32 v14, v117, v14
	v_add_f32_e32 v17, v169, v17
	v_fmac_f32_e32 v4, 0xbf788fa5, v39
	v_fma_f32 v7, 0x3f62ad3f, v39, -v6
	v_mul_f32_e32 v12, 0xbf29c268, v21
	v_fmac_f32_e32 v6, 0x3f62ad3f, v39
	v_mul_f32_e32 v9, 0xbf29c268, v23
	v_add_f32_e32 v18, v170, v18
	v_add_f32_e32 v41, v5, v15
	v_fmamk_f32 v5, v24, 0x3f62ad3f, v8
	v_add_f32_e32 v40, v4, v14
	v_add_f32_e32 v4, v7, v17
	v_fma_f32 v7, 0x3f62ad3f, v24, -v8
	v_fma_f32 v8, 0xbf3f9e67, v39, -v12
	v_add_f32_e32 v6, v6, v10
	v_fmamk_f32 v10, v24, 0xbf3f9e67, v9
	v_mul_f32_e32 v17, 0xbf6f5d39, v23
	v_add_f32_e32 v13, v168, v13
	v_mul_f32_e32 v14, 0x3f52af12, v21
	v_add_f32_e32 v5, v5, v18
	v_fmac_f32_e32 v12, 0xbf3f9e67, v39
	v_mul_f32_e32 v18, 0xbf6f5d39, v21
	v_add_f32_e32 v7, v7, v11
	v_add_f32_e32 v8, v8, v19
	v_fma_f32 v11, 0xbf3f9e67, v24, -v9
	v_add_f32_e32 v9, v10, v27
	v_fmamk_f32 v19, v24, 0xbeb58ec6, v17
	v_fma_f32 v27, 0xbeb58ec6, v24, -v17
	v_add_f32_e32 v3, v3, v13
	v_fma_f32 v13, 0x3f116cb1, v39, -v14
	v_mul_f32_e32 v15, 0x3f52af12, v23
	v_add_f32_e32 v10, v12, v28
	v_fma_f32 v16, 0xbeb58ec6, v39, -v18
	v_fmac_f32_e32 v18, 0xbeb58ec6, v39
	v_mul_f32_e32 v28, 0x3f7e222b, v21
	v_mul_f32_e32 v21, 0x3f7e222b, v23
	v_add_f32_e32 v17, v19, v35
	v_add_f32_e32 v19, v27, v36
	v_mul_lo_u16 v27, v42, 13
	v_mov_b32_e32 v51, 3
	v_add_f32_e32 v12, v13, v30
	v_fmamk_f32 v13, v24, 0x3f116cb1, v15
	v_fma_f32 v15, 0x3f116cb1, v24, -v15
	v_add_f32_e32 v18, v18, v20
	v_fma_f32 v20, 0x3df6dbef, v39, -v28
	v_fmamk_f32 v23, v24, 0x3df6dbef, v21
	v_fmac_f32_e32 v28, 0x3df6dbef, v39
	v_fma_f32 v24, 0x3df6dbef, v24, -v21
	v_fmac_f32_e32 v14, 0x3f116cb1, v39
	v_lshlrev_b32_sdwa v70, v51, v27 dst_sel:DWORD dst_unused:UNUSED_PAD src0_sel:DWORD src1_sel:WORD_0
	v_add_f32_e32 v13, v13, v31
	v_add_f32_e32 v16, v16, v34
	;; [unrolled: 1-line block ×9, first 2 shown]
	ds_write2_b64 v70, v[0:1], v[2:3] offset1:1
	ds_write2_b64 v70, v[4:5], v[8:9] offset0:2 offset1:3
	ds_write2_b64 v70, v[12:13], v[16:17] offset0:4 offset1:5
	;; [unrolled: 1-line block ×5, first 2 shown]
	ds_write_b64 v70, v[40:41] offset:96
	v_add_nc_u32_e32 v0, 0x1e00, v127
	v_add_nc_u32_e32 v1, 0x2800, v127
	;; [unrolled: 1-line block ×4, first 2 shown]
	s_waitcnt lgkmcnt(0)
	s_barrier
	buffer_gl0_inv
	ds_read2_b64 v[8:11], v127 offset1:156
	ds_read2_b64 v[20:23], v22 offset0:56 offset1:251
	ds_read2_b64 v[36:39], v0 offset0:54 offset1:210
	;; [unrolled: 1-line block ×5, first 2 shown]
                                        ; implicit-def: $vgpr42
                                        ; implicit-def: $vgpr44
                                        ; implicit-def: $vgpr46
	s_and_saveexec_b32 s0, vcc_lo
	s_cbranch_execz .LBB0_3
; %bb.2:
	ds_read_b64 v[40:41], v127 offset:3744
	ds_read_b64 v[46:47], v127 offset:7800
	;; [unrolled: 1-line block ×4, first 2 shown]
.LBB0_3:
	s_or_b32 exec_lo, exec_lo, s0
	v_add_co_u32 v48, null, 0x9c, v128
	v_and_b32_e32 v0, 0xff, v128
	v_mov_b32_e32 v1, 0x4ec5
	v_add_co_u32 v49, null, 0x138, v128
	v_add_nc_u16 v50, v128, 0x1d4
	v_mul_lo_u16 v0, 0x4f, v0
	v_mul_u32_u24_sdwa v2, v48, v1 dst_sel:DWORD dst_unused:UNUSED_PAD src0_sel:WORD_0 src1_sel:DWORD
	v_mul_u32_u24_sdwa v3, v49, v1 dst_sel:DWORD dst_unused:UNUSED_PAD src0_sel:WORD_0 src1_sel:DWORD
	v_lshrrev_b16 v54, 10, v0
	v_lshrrev_b32_e32 v55, 18, v2
	v_mul_u32_u24_sdwa v0, v50, v1 dst_sel:DWORD dst_unused:UNUSED_PAD src0_sel:WORD_0 src1_sel:DWORD
	v_lshrrev_b32_e32 v56, 18, v3
	v_mul_lo_u16 v1, v54, 13
	v_mul_lo_u16 v2, v55, 13
	v_lshrrev_b32_e32 v129, 18, v0
	v_mul_lo_u16 v0, v56, 13
	v_sub_nc_u16 v1, v128, v1
	v_sub_nc_u16 v57, v48, v2
	v_mul_lo_u16 v2, v129, 13
	v_sub_nc_u16 v58, v49, v0
	v_and_b32_e32 v59, 0xff, v1
	v_mul_lo_u16 v3, v57, 24
	v_sub_nc_u16 v130, v50, v2
	v_mul_lo_u16 v2, v58, 24
	v_mad_u64_u32 v[0:1], null, v59, 24, s[2:3]
	v_mul_lo_u16 v4, v130, 24
	v_and_b32_e32 v3, 0xffff, v3
	v_and_b32_e32 v5, 0xffff, v2
	s_clause 0x1
	global_load_dwordx2 v[117:118], v[0:1], off offset:16
	global_load_dwordx4 v[16:19], v[0:1], off
	v_and_b32_e32 v52, 0xffff, v4
	v_add_co_u32 v2, s0, s2, v3
	v_add_co_ci_u32_e64 v3, null, s3, 0, s0
	v_add_co_u32 v0, s0, s2, v5
	v_add_co_ci_u32_e64 v1, null, s3, 0, s0
	;; [unrolled: 2-line block ×3, first 2 shown]
	s_clause 0x5
	global_load_dwordx4 v[12:15], v[2:3], off
	global_load_dwordx2 v[115:116], v[2:3], off offset:16
	global_load_dwordx4 v[4:7], v[0:1], off
	global_load_dwordx2 v[113:114], v[0:1], off offset:16
	;; [unrolled: 2-line block ×3, first 2 shown]
	v_mov_b32_e32 v52, 52
	v_mad_u16 v53, v55, 52, v57
	s_waitcnt vmcnt(0) lgkmcnt(0)
	s_barrier
	buffer_gl0_inv
	v_mul_u32_u24_sdwa v52, v54, v52 dst_sel:DWORD dst_unused:UNUSED_PAD src0_sel:WORD_0 src1_sel:DWORD
	v_mad_u16 v54, v56, 52, v58
	v_lshlrev_b32_sdwa v133, v51, v53 dst_sel:DWORD dst_unused:UNUSED_PAD src0_sel:DWORD src1_sel:WORD_0
	v_add_lshl_u32 v134, v52, v59, 3
	v_lshlrev_b32_sdwa v132, v51, v54 dst_sel:DWORD dst_unused:UNUSED_PAD src0_sel:DWORD src1_sel:WORD_0
	v_mul_f32_e32 v55, v27, v118
	v_mul_f32_e32 v51, v23, v17
	;; [unrolled: 1-line block ×6, first 2 shown]
	v_fma_f32 v22, v22, v16, -v51
	v_fmac_f32_e32 v52, v23, v16
	v_fma_f32 v23, v36, v18, -v53
	v_fmac_f32_e32 v54, v37, v18
	;; [unrolled: 2-line block ×3, first 2 shown]
	v_mul_f32_e32 v58, v32, v13
	v_mul_f32_e32 v57, v33, v13
	;; [unrolled: 1-line block ×18, first 2 shown]
	v_fmac_f32_e32 v58, v33, v12
	v_fmac_f32_e32 v71, v25, v6
	v_fma_f32 v25, v30, v113, -v72
	v_fmac_f32_e32 v73, v31, v113
	v_fma_f32 v30, v46, v0, -v74
	;; [unrolled: 2-line block ×5, first 2 shown]
	v_fma_f32 v32, v38, v14, -v59
	v_fmac_f32_e32 v62, v39, v14
	v_fma_f32 v28, v28, v115, -v63
	v_fmac_f32_e32 v64, v29, v115
	v_fma_f32 v29, v34, v4, -v65
	v_fmac_f32_e32 v66, v35, v4
	v_fma_f32 v24, v24, v6, -v67
	v_sub_f32_e32 v34, v8, v23
	v_sub_f32_e32 v35, v9, v54
	;; [unrolled: 1-line block ×16, first 2 shown]
	v_fma_f32 v44, v8, 2.0, -v34
	v_fma_f32 v45, v9, 2.0, -v35
	;; [unrolled: 1-line block ×8, first 2 shown]
	v_sub_f32_e32 v8, v34, v26
	v_fma_f32 v47, v10, 2.0, -v32
	v_fma_f32 v51, v11, 2.0, -v36
	;; [unrolled: 1-line block ×4, first 2 shown]
	v_sub_f32_e32 v10, v32, v37
	v_fma_f32 v37, v20, 2.0, -v38
	v_fma_f32 v52, v21, 2.0, -v39
	v_fma_f32 v53, v29, 2.0, -v24
	v_fma_f32 v54, v66, 2.0, -v25
	v_add_f32_e32 v9, v35, v23
	v_sub_f32_e32 v119, v42, v33
	v_add_f32_e32 v120, v43, v31
	v_sub_f32_e32 v22, v44, v22
	v_sub_f32_e32 v23, v45, v46
	;; [unrolled: 1-line block ×4, first 2 shown]
	v_add_f32_e32 v11, v36, v28
	v_sub_f32_e32 v26, v47, v26
	v_sub_f32_e32 v27, v51, v27
	;; [unrolled: 1-line block ×3, first 2 shown]
	v_add_f32_e32 v21, v39, v24
	v_sub_f32_e32 v30, v37, v53
	v_sub_f32_e32 v31, v52, v54
	v_fma_f32 v24, v34, 2.0, -v8
	v_fma_f32 v25, v35, 2.0, -v9
	;; [unrolled: 1-line block ×10, first 2 shown]
	ds_write2_b64 v134, v[22:23], v[8:9] offset0:26 offset1:39
	v_fma_f32 v8, v47, 2.0, -v26
	v_fma_f32 v9, v51, 2.0, -v27
	;; [unrolled: 1-line block ×6, first 2 shown]
	ds_write2_b64 v134, v[34:35], v[24:25] offset1:13
	ds_write2_b64 v133, v[26:27], v[10:11] offset0:26 offset1:39
	ds_write2_b64 v133, v[8:9], v[28:29] offset1:13
	ds_write2_b64 v132, v[22:23], v[32:33] offset1:13
	ds_write2_b64 v132, v[30:31], v[20:21] offset0:26 offset1:39
	s_and_saveexec_b32 s0, vcc_lo
	s_cbranch_execz .LBB0_5
; %bb.4:
	v_mad_u16 v8, v129, 52, v130
	v_mov_b32_e32 v9, 3
	v_lshlrev_b32_sdwa v8, v9, v8 dst_sel:DWORD dst_unused:UNUSED_PAD src0_sel:DWORD src1_sel:WORD_0
	ds_write2_b64 v8, v[62:63], v[66:67] offset1:13
	ds_write2_b64 v8, v[64:65], v[119:120] offset0:26 offset1:39
.LBB0_5:
	s_or_b32 exec_lo, exec_lo, s0
	v_add_nc_u32_e32 v8, 0x1400, v127
	v_add_nc_u32_e32 v9, 0x2800, v127
	v_add_nc_u32_e32 v10, 0x800, v127
	v_add_nc_u32_e32 v11, 0x1c00, v127
	v_add_nc_u32_e32 v24, 0x3400, v127
	s_waitcnt lgkmcnt(0)
	s_barrier
	buffer_gl0_inv
	ds_read2_b64 v[20:23], v127 offset1:156
	ds_read2_b64 v[56:59], v8 offset0:36 offset1:192
	ds_read2_b64 v[52:55], v9 offset0:72 offset1:228
	ds_read2_b64 v[28:31], v10 offset0:56 offset1:212
	ds_read2_b64 v[44:47], v11 offset0:92 offset1:248
	ds_read2_b64 v[32:35], v24 offset1:156
	v_cmp_gt_u16_e64 s0, 52, v128
	s_and_saveexec_b32 s1, s0
	s_cbranch_execz .LBB0_7
; %bb.6:
	ds_read_b64 v[62:63], v127 offset:4992
	ds_read_b64 v[66:67], v127 offset:10400
	ds_read_b64 v[64:65], v127 offset:15808
.LBB0_7:
	s_or_b32 exec_lo, exec_lo, s1
	v_mov_b32_e32 v9, 0x4ec5
	v_and_b32_e32 v8, 0xff, v128
	v_add_nc_u32_e32 v10, 0x270, v128
	v_mov_b32_e32 v80, 0x9c
	v_mov_b32_e32 v71, 3
	v_mul_u32_u24_sdwa v11, v48, v9 dst_sel:DWORD dst_unused:UNUSED_PAD src0_sel:WORD_0 src1_sel:DWORD
	v_mul_lo_u16 v8, 0x4f, v8
	v_mul_u32_u24_sdwa v24, v49, v9 dst_sel:DWORD dst_unused:UNUSED_PAD src0_sel:WORD_0 src1_sel:DWORD
	v_mul_u32_u24_sdwa v25, v50, v9 dst_sel:DWORD dst_unused:UNUSED_PAD src0_sel:WORD_0 src1_sel:DWORD
	;; [unrolled: 1-line block ×3, first 2 shown]
	v_lshrrev_b32_e32 v73, 20, v11
	v_lshrrev_b16 v72, 12, v8
	v_lshrrev_b32_e32 v74, 20, v24
	v_lshrrev_b32_e32 v75, 20, v25
	;; [unrolled: 1-line block ×3, first 2 shown]
	v_mul_lo_u16 v11, v73, 52
	v_mul_lo_u16 v9, v72, 52
	;; [unrolled: 1-line block ×5, first 2 shown]
	v_sub_nc_u16 v76, v48, v11
	v_sub_nc_u16 v9, v128, v9
	v_sub_nc_u16 v77, v49, v24
	v_sub_nc_u16 v78, v50, v25
	v_sub_nc_u16 v131, v10, v8
	v_lshlrev_b16 v8, 4, v76
	v_and_b32_e32 v79, 0xff, v9
	v_lshlrev_b16 v9, 4, v77
	v_lshlrev_b16 v10, 4, v78
	;; [unrolled: 1-line block ×3, first 2 shown]
	v_and_b32_e32 v8, 0xffff, v8
	v_lshlrev_b32_e32 v24, 4, v79
	v_and_b32_e32 v25, 0xffff, v9
	v_and_b32_e32 v26, 0xffff, v10
	;; [unrolled: 1-line block ×3, first 2 shown]
	v_add_co_u32 v8, s1, s2, v8
	v_add_co_ci_u32_e64 v9, null, s3, 0, s1
	v_add_co_u32 v10, s1, s2, v25
	v_add_co_ci_u32_e64 v11, null, s3, 0, s1
	s_clause 0x1
	global_load_dwordx4 v[48:51], v24, s[2:3] offset:312
	global_load_dwordx4 v[40:43], v[8:9], off offset:312
	v_add_co_u32 v8, s1, s2, v26
	v_add_co_ci_u32_e64 v9, null, s3, 0, s1
	global_load_dwordx4 v[36:39], v[10:11], off offset:312
	v_add_co_u32 v10, s1, s2, v27
	v_add_co_ci_u32_e64 v11, null, s3, 0, s1
	s_clause 0x1
	global_load_dwordx4 v[24:27], v[8:9], off offset:312
	global_load_dwordx4 v[8:11], v[10:11], off offset:312
	v_mul_u32_u24_sdwa v72, v72, v80 dst_sel:DWORD dst_unused:UNUSED_PAD src0_sel:WORD_0 src1_sel:DWORD
	v_mad_u16 v73, 0x9c, v73, v76
	v_mad_u16 v74, 0x9c, v74, v77
	;; [unrolled: 1-line block ×3, first 2 shown]
	s_waitcnt vmcnt(0) lgkmcnt(0)
	v_add_lshl_u32 v138, v72, v79, 3
	v_lshlrev_b32_sdwa v137, v71, v73 dst_sel:DWORD dst_unused:UNUSED_PAD src0_sel:DWORD src1_sel:WORD_0
	v_lshlrev_b32_sdwa v136, v71, v74 dst_sel:DWORD dst_unused:UNUSED_PAD src0_sel:DWORD src1_sel:WORD_0
	;; [unrolled: 1-line block ×3, first 2 shown]
	s_barrier
	buffer_gl0_inv
	v_mul_f32_e32 v72, v57, v49
	v_mul_f32_e32 v73, v56, v49
	;; [unrolled: 1-line block ×5, first 2 shown]
	v_fma_f32 v56, v56, v48, -v72
	v_fmac_f32_e32 v73, v57, v48
	v_fma_f32 v57, v52, v50, -v74
	v_fmac_f32_e32 v75, v53, v50
	v_mul_f32_e32 v72, v59, v41
	v_mul_f32_e32 v74, v58, v41
	;; [unrolled: 1-line block ×15, first 2 shown]
	v_fma_f32 v58, v58, v40, -v72
	v_fmac_f32_e32 v74, v59, v40
	v_fma_f32 v54, v54, v42, -v76
	v_fmac_f32_e32 v77, v55, v42
	;; [unrolled: 2-line block ×3, first 2 shown]
	v_fmac_f32_e32 v83, v47, v24
	v_fma_f32 v59, v34, v26, -v121
	v_fmac_f32_e32 v122, v35, v26
	v_fma_f32 v33, v66, v8, -v123
	;; [unrolled: 2-line block ×3, first 2 shown]
	v_fmac_f32_e32 v52, v65, v10
	v_add_f32_e32 v34, v20, v56
	v_fma_f32 v44, v44, v36, -v78
	v_fmac_f32_e32 v79, v45, v36
	v_add_f32_e32 v35, v56, v57
	v_add_f32_e32 v47, v21, v73
	v_fma_f32 v45, v46, v24, -v82
	v_add_f32_e32 v64, v73, v75
	v_sub_f32_e32 v56, v56, v57
	v_add_f32_e32 v34, v34, v57
	v_add_f32_e32 v57, v58, v54
	;; [unrolled: 1-line block ×3, first 2 shown]
	v_sub_f32_e32 v80, v83, v122
	v_add_f32_e32 v82, v31, v83
	v_add_f32_e32 v83, v83, v122
	;; [unrolled: 1-line block ×4, first 2 shown]
	v_sub_f32_e32 v46, v73, v75
	v_fma_f32 v20, -0.5, v35, v20
	v_add_f32_e32 v35, v47, v75
	v_add_f32_e32 v72, v44, v55
	;; [unrolled: 1-line block ×3, first 2 shown]
	v_fma_f32 v21, -0.5, v64, v21
	v_add_f32_e32 v47, v22, v58
	v_sub_f32_e32 v64, v74, v77
	v_add_f32_e32 v65, v23, v74
	v_sub_f32_e32 v67, v58, v54
	v_sub_f32_e32 v73, v79, v81
	v_add_f32_e32 v74, v29, v79
	v_add_f32_e32 v78, v30, v45
	;; [unrolled: 1-line block ×3, first 2 shown]
	v_sub_f32_e32 v123, v45, v59
	v_sub_f32_e32 v124, v53, v52
	;; [unrolled: 1-line block ×3, first 2 shown]
	v_fma_f32 v22, -0.5, v57, v22
	v_fmac_f32_e32 v23, -0.5, v66
	v_add_f32_e32 v57, v82, v122
	v_fmac_f32_e32 v31, -0.5, v83
	v_fma_f32 v121, -0.5, v121, v62
	v_fma_f32 v122, -0.5, v125, v63
	v_add_f32_e32 v58, v28, v44
	v_sub_f32_e32 v76, v44, v55
	v_fma_f32 v28, -0.5, v72, v28
	v_fma_f32 v29, -0.5, v75, v29
	v_fmamk_f32 v44, v46, 0x3f5db3d7, v20
	v_fmamk_f32 v45, v56, 0xbf5db3d7, v21
	v_fmac_f32_e32 v21, 0x3f5db3d7, v56
	v_add_f32_e32 v56, v78, v59
	v_fma_f32 v30, -0.5, v79, v30
	v_fmamk_f32 v59, v67, 0xbf5db3d7, v23
	v_fmac_f32_e32 v23, 0x3f5db3d7, v67
	v_fmamk_f32 v67, v123, 0xbf5db3d7, v31
	v_fmac_f32_e32 v31, 0x3f5db3d7, v123
	;; [unrolled: 2-line block ×4, first 2 shown]
	v_fmac_f32_e32 v20, 0xbf5db3d7, v46
	v_add_f32_e32 v46, v47, v54
	v_add_f32_e32 v47, v65, v77
	;; [unrolled: 1-line block ×3, first 2 shown]
	v_fmamk_f32 v58, v64, 0x3f5db3d7, v22
	v_fmac_f32_e32 v22, 0xbf5db3d7, v64
	v_add_f32_e32 v55, v74, v81
	v_fmamk_f32 v64, v73, 0x3f5db3d7, v28
	v_fmamk_f32 v65, v76, 0xbf5db3d7, v29
	v_fmac_f32_e32 v28, 0xbf5db3d7, v73
	v_fmac_f32_e32 v29, 0x3f5db3d7, v76
	v_fmamk_f32 v66, v80, 0x3f5db3d7, v30
	v_fmac_f32_e32 v30, 0xbf5db3d7, v80
	ds_write2_b64 v138, v[34:35], v[44:45] offset1:52
	ds_write_b64 v138, v[20:21] offset:832
	ds_write2_b64 v137, v[46:47], v[58:59] offset1:52
	ds_write_b64 v137, v[22:23] offset:832
	;; [unrolled: 2-line block ×4, first 2 shown]
	s_and_saveexec_b32 s1, s0
	s_cbranch_execz .LBB0_9
; %bb.8:
	v_add_f32_e32 v20, v63, v53
	v_add_f32_e32 v22, v62, v33
	v_lshlrev_b32_sdwa v23, v71, v131 dst_sel:DWORD dst_unused:UNUSED_PAD src0_sel:DWORD src1_sel:WORD_0
	v_add_f32_e32 v21, v20, v52
	v_add_f32_e32 v20, v22, v32
	v_add_nc_u32_e32 v22, 0x3800, v23
	ds_write2_b64 v22, v[20:21], v[123:124] offset0:80 offset1:132
	ds_write_b64 v23, v[121:122] offset:15808
.LBB0_9:
	s_or_b32 exec_lo, exec_lo, s1
	v_mad_u64_u32 v[28:29], null, 0x60, v128, s[2:3]
	s_waitcnt lgkmcnt(0)
	s_barrier
	buffer_gl0_inv
	v_add_nc_u32_e32 v62, 0x800, v127
	v_add_nc_u32_e32 v65, 0x1200, v127
	;; [unrolled: 1-line block ×3, first 2 shown]
	s_clause 0x5
	global_load_dwordx4 v[56:59], v[28:29], off offset:1144
	global_load_dwordx4 v[52:55], v[28:29], off offset:1160
	;; [unrolled: 1-line block ×6, first 2 shown]
	ds_read2_b64 v[74:77], v62 offset0:56 offset1:212
	ds_read2_b64 v[78:81], v65 offset0:48 offset1:204
	v_add_nc_u32_e32 v64, 0x1c00, v127
	ds_read2_b64 v[143:146], v66 offset0:96 offset1:252
	v_add_nc_u32_e32 v63, 0x3000, v127
	ds_read2_b64 v[163:166], v127 offset1:156
	ds_read2_b64 v[139:142], v64 offset0:40 offset1:196
	ds_read2_b64 v[147:150], v63 offset0:24 offset1:180
	s_waitcnt vmcnt(5) lgkmcnt(5)
	v_mul_f32_e32 v82, v75, v59
	s_waitcnt vmcnt(4)
	v_mul_f32_e32 v71, v76, v53
	s_waitcnt vmcnt(3) lgkmcnt(4)
	v_mul_f32_e32 v126, v81, v33
	v_mul_f32_e32 v67, v74, v59
	;; [unrolled: 1-line block ×4, first 2 shown]
	v_fma_f32 v74, v74, v58, -v82
	v_fmac_f32_e32 v71, v77, v52
	v_fma_f32 v77, v80, v32, -v126
	s_waitcnt vmcnt(2) lgkmcnt(3)
	v_mul_f32_e32 v82, v143, v23
	s_waitcnt vmcnt(1)
	v_mul_f32_e32 v126, v146, v45
	v_fmac_f32_e32 v67, v75, v58
	v_fma_f32 v75, v76, v52, -v83
	v_fma_f32 v76, v78, v54, -v125
	v_mul_f32_e32 v125, v144, v23
	v_mul_f32_e32 v83, v145, v45
	v_fmac_f32_e32 v82, v144, v22
	v_fma_f32 v126, v145, v44, -v126
	ds_read_b64 v[144:145], v127 offset:14976
	v_mul_f32_e32 v73, v80, v33
	v_fma_f32 v125, v143, v22, -v125
	v_mul_f32_e32 v72, v78, v55
	v_fmac_f32_e32 v83, v146, v44
	s_waitcnt lgkmcnt(2)
	v_mul_f32_e32 v80, v140, v35
	v_fmac_f32_e32 v73, v81, v32
	v_mul_f32_e32 v81, v142, v21
	v_fmac_f32_e32 v72, v79, v54
	v_mul_f32_e32 v78, v139, v35
	v_mul_f32_e32 v79, v141, v21
	v_fma_f32 v80, v139, v34, -v80
	v_fma_f32 v81, v141, v20, -v81
	s_waitcnt lgkmcnt(1)
	v_mul_f32_e32 v141, v148, v47
	v_fmac_f32_e32 v78, v140, v34
	v_fmac_f32_e32 v79, v142, v20
	v_mul_f32_e32 v139, v147, v47
	s_waitcnt vmcnt(0)
	v_mul_f32_e32 v142, v150, v29
	v_mul_f32_e32 v140, v149, v29
	v_fma_f32 v141, v147, v46, -v141
	s_waitcnt lgkmcnt(0)
	v_mul_f32_e32 v143, v144, v31
	v_mul_f32_e32 v146, v145, v31
	v_fmac_f32_e32 v139, v148, v46
	v_fma_f32 v142, v149, v28, -v142
	v_fmac_f32_e32 v140, v150, v28
	v_fmac_f32_e32 v143, v145, v30
	v_mul_f32_e32 v145, v165, v57
	v_fma_f32 v144, v144, v30, -v146
	v_mul_f32_e32 v146, v166, v57
	v_sub_f32_e32 v184, v72, v83
	v_add_f32_e32 v187, v72, v83
	v_fmac_f32_e32 v145, v166, v56
	v_add_f32_e32 v190, v77, v125
	v_fma_f32 v146, v165, v56, -v146
	v_mul_f32_e32 v185, 0xbf6f5d39, v184
	v_add_f32_e32 v193, v73, v82
	v_sub_f32_e32 v147, v145, v143
	v_add_f32_e32 v165, v145, v143
	v_add_f32_e32 v153, v146, v144
	;; [unrolled: 1-line block ×4, first 2 shown]
	v_mul_f32_e32 v148, 0xbeedf032, v147
	v_mul_f32_e32 v149, 0xbf52af12, v147
	;; [unrolled: 1-line block ×6, first 2 shown]
	v_fma_f32 v154, 0x3f62ad3f, v153, -v148
	v_fmac_f32_e32 v148, 0x3f62ad3f, v153
	v_fma_f32 v155, 0x3f116cb1, v153, -v149
	v_fmac_f32_e32 v149, 0x3f116cb1, v153
	;; [unrolled: 2-line block ×6, first 2 shown]
	v_sub_f32_e32 v153, v146, v144
	v_add_f32_e32 v182, v163, v154
	v_sub_f32_e32 v154, v67, v140
	v_add_f32_e32 v170, v163, v148
	v_add_f32_e32 v168, v163, v155
	v_mul_f32_e32 v158, 0xbeedf032, v153
	v_mul_f32_e32 v160, 0xbf7e222b, v153
	;; [unrolled: 1-line block ×5, first 2 shown]
	v_fmamk_f32 v166, v165, 0x3f62ad3f, v158
	v_fma_f32 v158, 0x3f62ad3f, v165, -v158
	v_fmamk_f32 v173, v165, 0x3df6dbef, v160
	v_mul_f32_e32 v153, 0xbe750f2a, v153
	v_fma_f32 v160, 0x3df6dbef, v165, -v160
	v_fmamk_f32 v176, v165, 0xbeb58ec6, v161
	v_fma_f32 v177, 0xbeb58ec6, v165, -v161
	v_add_f32_e32 v169, v164, v158
	v_add_f32_e32 v161, v164, v173
	;; [unrolled: 1-line block ×5, first 2 shown]
	v_mul_f32_e32 v173, 0xbf52af12, v154
	v_fmamk_f32 v167, v165, 0x3f116cb1, v159
	v_fma_f32 v159, 0x3f116cb1, v165, -v159
	v_fmamk_f32 v178, v165, 0xbf3f9e67, v162
	v_fma_f32 v179, 0xbf3f9e67, v165, -v162
	;; [unrolled: 2-line block ×3, first 2 shown]
	v_add_f32_e32 v183, v164, v166
	v_add_f32_e32 v166, v163, v149
	;; [unrolled: 1-line block ×9, first 2 shown]
	v_fma_f32 v163, 0x3f116cb1, v147, -v173
	v_sub_f32_e32 v171, v74, v142
	v_add_f32_e32 v165, v164, v159
	v_add_f32_e32 v159, v164, v176
	;; [unrolled: 1-line block ×5, first 2 shown]
	v_mul_f32_e32 v180, 0xbf52af12, v171
	v_add_f32_e32 v167, v164, v167
	v_add_f32_e32 v157, v164, v177
	;; [unrolled: 1-line block ×5, first 2 shown]
	v_fmamk_f32 v164, v163, 0x3f116cb1, v180
	v_sub_f32_e32 v172, v71, v139
	v_sub_f32_e32 v182, v75, v141
	v_add_f32_e32 v74, v174, v74
	v_add_f32_e32 v67, v175, v67
	;; [unrolled: 1-line block ×4, first 2 shown]
	v_mul_f32_e32 v181, 0xbf7e222b, v172
	v_mul_f32_e32 v183, 0xbf7e222b, v182
	v_add_f32_e32 v74, v74, v75
	v_add_f32_e32 v67, v67, v71
	;; [unrolled: 1-line block ×3, first 2 shown]
	v_fma_f32 v178, 0x3df6dbef, v164, -v181
	v_add_f32_e32 v199, v78, v79
	v_fmac_f32_e32 v173, 0x3f116cb1, v147
	v_add_f32_e32 v67, v67, v72
	v_fmac_f32_e32 v181, 0x3df6dbef, v164
	v_add_f32_e32 v178, v178, v176
	v_add_f32_e32 v176, v71, v139
	v_add_f32_e32 v71, v74, v76
	v_add_f32_e32 v67, v67, v73
	v_mul_f32_e32 v75, 0xbf6f5d39, v171
	v_fmamk_f32 v179, v176, 0x3df6dbef, v183
	v_add_f32_e32 v71, v71, v77
	v_add_f32_e32 v67, v67, v78
	v_fmamk_f32 v74, v163, 0xbeb58ec6, v75
	v_fma_f32 v75, 0xbeb58ec6, v163, -v75
	v_add_f32_e32 v179, v179, v177
	v_add_f32_e32 v177, v76, v126
	;; [unrolled: 1-line block ×6, first 2 shown]
	v_fma_f32 v186, 0xbeb58ec6, v177, -v185
	v_add_f32_e32 v71, v71, v81
	v_add_f32_e32 v67, v67, v82
	v_fmac_f32_e32 v185, 0xbeb58ec6, v177
	v_mul_f32_e32 v165, 0x3eedf032, v184
	v_add_f32_e32 v178, v186, v178
	v_sub_f32_e32 v186, v76, v126
	v_add_f32_e32 v71, v71, v125
	v_add_f32_e32 v67, v67, v83
	v_mul_f32_e32 v76, 0xbe750f2a, v172
	v_mul_f32_e32 v188, 0xbf6f5d39, v186
	v_add_f32_e32 v71, v71, v126
	v_add_f32_e32 v67, v67, v139
	v_fmamk_f32 v189, v187, 0xbeb58ec6, v188
	v_add_f32_e32 v71, v71, v141
	v_add_f32_e32 v67, v67, v140
	;; [unrolled: 1-line block ×3, first 2 shown]
	v_sub_f32_e32 v189, v73, v82
	v_add_f32_e32 v71, v71, v142
	v_add_f32_e32 v72, v67, v143
	;; [unrolled: 1-line block ×3, first 2 shown]
	v_mul_f32_e32 v191, 0xbf29c268, v189
	v_add_f32_e32 v71, v71, v144
	v_mul_f32_e32 v167, 0xbf52af12, v189
	v_add_f32_e32 v67, v181, v67
	v_fma_f32 v192, 0xbf3f9e67, v190, -v191
	v_fmac_f32_e32 v191, 0xbf3f9e67, v190
	v_add_f32_e32 v67, v185, v67
	v_add_f32_e32 v178, v192, v178
	v_sub_f32_e32 v192, v77, v125
	v_fma_f32 v77, 0xbf788fa5, v164, -v76
	v_add_f32_e32 v67, v191, v67
	v_fmac_f32_e32 v76, 0xbf788fa5, v164
	v_mul_f32_e32 v194, 0xbf29c268, v192
	v_fmamk_f32 v195, v193, 0xbf3f9e67, v194
	v_add_f32_e32 v179, v195, v179
	v_sub_f32_e32 v195, v78, v79
	v_mul_f32_e32 v197, 0xbe750f2a, v195
	v_mul_f32_e32 v173, 0xbf6f5d39, v195
	v_fma_f32 v198, 0xbf788fa5, v196, -v197
	v_fmac_f32_e32 v197, 0xbf788fa5, v196
	v_add_f32_e32 v178, v198, v178
	v_sub_f32_e32 v198, v80, v81
	v_mul_f32_e32 v200, 0xbe750f2a, v198
	v_mul_f32_e32 v170, 0xbf29c268, v198
	;; [unrolled: 1-line block ×3, first 2 shown]
	v_fmamk_f32 v201, v199, 0xbf788fa5, v200
	v_fma_f32 v73, 0xbf788fa5, v199, -v200
	v_add_f32_e32 v179, v201, v179
	ds_write2_b64 v127, v[71:72], v[178:179] offset1:156
	v_fma_f32 v71, 0x3f116cb1, v163, -v180
	v_fma_f32 v72, 0x3df6dbef, v176, -v183
	v_mul_f32_e32 v179, 0x3f7e222b, v198
	v_add_f32_e32 v71, v71, v169
	v_mul_f32_e32 v169, 0xbf29c268, v195
	v_add_f32_e32 v71, v72, v71
	v_fma_f32 v72, 0xbeb58ec6, v187, -v188
	v_add_f32_e32 v71, v72, v71
	v_fma_f32 v72, 0xbf3f9e67, v193, -v194
	v_add_f32_e32 v72, v72, v71
	v_add_f32_e32 v71, v197, v67
	v_mul_f32_e32 v67, 0xbf6f5d39, v154
	v_add_f32_e32 v72, v73, v72
	v_fma_f32 v73, 0xbeb58ec6, v147, -v67
	v_fmac_f32_e32 v67, 0xbeb58ec6, v147
	v_add_f32_e32 v73, v73, v168
	v_add_f32_e32 v67, v67, v166
	v_mul_f32_e32 v166, 0x3eedf032, v186
	v_mul_f32_e32 v168, 0xbf52af12, v192
	v_add_f32_e32 v73, v77, v73
	v_mul_f32_e32 v77, 0xbe750f2a, v182
	v_add_f32_e32 v67, v76, v67
	v_fmamk_f32 v78, v176, 0xbf788fa5, v77
	v_fma_f32 v76, 0xbf788fa5, v176, -v77
	v_add_f32_e32 v74, v78, v74
	v_mul_f32_e32 v78, 0x3f29c268, v184
	v_add_f32_e32 v75, v76, v75
	v_fma_f32 v79, 0xbf3f9e67, v177, -v78
	v_fmac_f32_e32 v78, 0xbf3f9e67, v177
	v_add_f32_e32 v73, v79, v73
	v_mul_f32_e32 v79, 0x3f29c268, v186
	v_add_f32_e32 v67, v78, v67
	v_fmamk_f32 v80, v187, 0xbf3f9e67, v79
	v_fma_f32 v76, 0xbf3f9e67, v187, -v79
	v_add_f32_e32 v74, v80, v74
	v_mul_f32_e32 v80, 0x3f7e222b, v189
	v_add_f32_e32 v75, v76, v75
	v_fma_f32 v81, 0x3df6dbef, v190, -v80
	v_fmac_f32_e32 v80, 0x3df6dbef, v190
	v_add_f32_e32 v73, v81, v73
	v_mul_f32_e32 v81, 0x3f7e222b, v192
	v_add_f32_e32 v67, v80, v67
	v_fmamk_f32 v82, v193, 0x3df6dbef, v81
	v_fma_f32 v76, 0x3df6dbef, v193, -v81
	v_mul_f32_e32 v81, 0x3f29c268, v154
	v_add_f32_e32 v74, v82, v74
	v_mul_f32_e32 v82, 0x3eedf032, v195
	v_add_f32_e32 v76, v76, v75
	v_fma_f32 v83, 0x3f62ad3f, v196, -v82
	v_fmac_f32_e32 v82, 0x3f62ad3f, v196
	v_add_f32_e32 v73, v83, v73
	v_mul_f32_e32 v83, 0x3eedf032, v198
	v_add_f32_e32 v75, v82, v67
	v_mul_f32_e32 v67, 0xbe750f2a, v154
	v_mul_f32_e32 v82, 0x3f29c268, v171
	v_fmamk_f32 v125, v199, 0x3f62ad3f, v83
	v_fma_f32 v77, 0x3f62ad3f, v199, -v83
	v_mul_f32_e32 v83, 0xbe750f2a, v171
	v_fmamk_f32 v80, v163, 0xbf3f9e67, v82
	v_fma_f32 v82, 0xbf3f9e67, v163, -v82
	v_add_f32_e32 v74, v125, v74
	v_add_f32_e32 v76, v77, v76
	v_fmamk_f32 v78, v163, 0xbf788fa5, v83
	v_fma_f32 v77, 0xbf788fa5, v147, -v67
	v_mul_f32_e32 v125, 0x3eedf032, v172
	v_add_f32_e32 v80, v80, v159
	v_add_f32_e32 v82, v82, v157
	;; [unrolled: 1-line block ×3, first 2 shown]
	v_mul_f32_e32 v161, 0x3f6f5d39, v172
	v_add_f32_e32 v77, v77, v162
	v_mul_f32_e32 v162, 0x3f6f5d39, v182
	v_fma_f32 v126, 0x3f62ad3f, v164, -v125
	v_fmac_f32_e32 v125, 0x3f62ad3f, v164
	v_fma_f32 v79, 0xbeb58ec6, v164, -v161
	v_mul_f32_e32 v157, 0x3e750f2a, v184
	v_fmac_f32_e32 v67, 0xbf788fa5, v147
	v_fma_f32 v83, 0xbf788fa5, v163, -v83
	v_fmac_f32_e32 v161, 0xbeb58ec6, v164
	v_add_f32_e32 v77, v79, v77
	v_fmamk_f32 v79, v176, 0xbeb58ec6, v162
	v_add_f32_e32 v67, v67, v145
	v_add_f32_e32 v83, v83, v146
	v_fma_f32 v145, 0x3f62ad3f, v187, -v166
	v_fma_f32 v146, 0x3f116cb1, v193, -v168
	v_add_f32_e32 v78, v79, v78
	v_fma_f32 v79, 0x3f62ad3f, v177, -v165
	v_fmac_f32_e32 v165, 0x3f62ad3f, v177
	v_add_f32_e32 v67, v161, v67
	v_add_f32_e32 v77, v79, v77
	v_fmamk_f32 v79, v187, 0x3f62ad3f, v166
	v_add_f32_e32 v67, v165, v67
	v_add_f32_e32 v78, v79, v78
	v_fma_f32 v79, 0x3f116cb1, v190, -v167
	v_fmac_f32_e32 v167, 0x3f116cb1, v190
	v_add_f32_e32 v77, v79, v77
	v_fmamk_f32 v79, v193, 0x3f116cb1, v168
	v_add_f32_e32 v67, v167, v67
	v_add_f32_e32 v78, v79, v78
	v_fma_f32 v79, 0xbf3f9e67, v196, -v169
	v_fmac_f32_e32 v169, 0xbf3f9e67, v196
	v_add_f32_e32 v77, v79, v77
	v_fmamk_f32 v79, v199, 0xbf3f9e67, v170
	v_add_f32_e32 v78, v79, v78
	v_fma_f32 v79, 0xbf3f9e67, v147, -v81
	v_fmac_f32_e32 v81, 0xbf3f9e67, v147
	v_add_f32_e32 v79, v79, v160
	v_add_f32_e32 v81, v81, v158
	v_mul_f32_e32 v158, 0x3e750f2a, v186
	v_mul_f32_e32 v160, 0x3eedf032, v192
	v_add_f32_e32 v79, v126, v79
	v_mul_f32_e32 v126, 0x3eedf032, v182
	v_add_f32_e32 v81, v125, v81
	v_fmamk_f32 v139, v176, 0x3f62ad3f, v126
	v_fma_f32 v125, 0x3f62ad3f, v176, -v126
	v_add_f32_e32 v80, v139, v80
	v_mul_f32_e32 v139, 0xbf7e222b, v184
	v_add_f32_e32 v82, v125, v82
	v_fma_f32 v140, 0x3df6dbef, v177, -v139
	v_fmac_f32_e32 v139, 0x3df6dbef, v177
	v_add_f32_e32 v79, v140, v79
	v_mul_f32_e32 v140, 0xbf7e222b, v186
	v_add_f32_e32 v81, v139, v81
	v_fmamk_f32 v141, v187, 0x3df6dbef, v140
	v_fma_f32 v125, 0x3df6dbef, v187, -v140
	v_add_f32_e32 v80, v141, v80
	v_mul_f32_e32 v141, 0x3e750f2a, v189
	v_add_f32_e32 v82, v125, v82
	v_fma_f32 v142, 0xbf788fa5, v190, -v141
	v_fmac_f32_e32 v141, 0xbf788fa5, v190
	v_add_f32_e32 v79, v142, v79
	v_mul_f32_e32 v142, 0x3e750f2a, v192
	v_add_f32_e32 v81, v141, v81
	v_mul_f32_e32 v141, 0x3eedf032, v154
	v_fmamk_f32 v143, v193, 0xbf788fa5, v142
	v_fma_f32 v125, 0xbf788fa5, v193, -v142
	v_mul_f32_e32 v142, 0x3eedf032, v171
	v_add_f32_e32 v80, v143, v80
	v_mul_f32_e32 v143, 0x3f52af12, v195
	v_add_f32_e32 v82, v125, v82
	v_fmamk_f32 v140, v163, 0x3f62ad3f, v142
	v_fma_f32 v142, 0x3f62ad3f, v163, -v142
	v_fma_f32 v144, 0x3f116cb1, v196, -v143
	v_fmac_f32_e32 v143, 0x3f116cb1, v196
	v_add_f32_e32 v140, v140, v152
	v_mul_f32_e32 v152, 0xbf29c268, v172
	v_add_f32_e32 v142, v142, v150
	v_add_f32_e32 v79, v144, v79
	v_mul_f32_e32 v144, 0x3f52af12, v198
	v_add_f32_e32 v81, v143, v81
	v_mul_f32_e32 v143, 0x3f7e222b, v154
	v_fmamk_f32 v159, v199, 0x3f116cb1, v144
	v_fma_f32 v125, 0x3f116cb1, v199, -v144
	v_mul_f32_e32 v144, 0x3f7e222b, v171
	v_add_f32_e32 v80, v159, v80
	v_add_f32_e32 v82, v125, v82
	v_fmamk_f32 v126, v163, 0x3df6dbef, v144
	v_fma_f32 v125, 0x3df6dbef, v147, -v143
	v_mul_f32_e32 v159, 0x3eedf032, v189
	v_fmac_f32_e32 v143, 0x3df6dbef, v147
	v_fma_f32 v144, 0x3df6dbef, v163, -v144
	v_add_f32_e32 v126, v126, v155
	v_mul_f32_e32 v155, 0xbf52af12, v172
	v_add_f32_e32 v125, v125, v156
	v_mul_f32_e32 v156, 0xbf52af12, v182
	v_add_f32_e32 v143, v143, v149
	v_add_f32_e32 v144, v144, v148
	v_fma_f32 v139, 0x3f116cb1, v164, -v155
	v_fmac_f32_e32 v155, 0x3f116cb1, v164
	v_fma_f32 v148, 0x3f116cb1, v176, -v156
	v_add_f32_e32 v125, v139, v125
	v_fmamk_f32 v139, v176, 0x3f116cb1, v156
	v_add_f32_e32 v143, v155, v143
	v_add_f32_e32 v144, v148, v144
	v_fma_f32 v148, 0xbf788fa5, v187, -v158
	v_add_f32_e32 v126, v139, v126
	v_fma_f32 v139, 0xbf788fa5, v177, -v157
	v_fmac_f32_e32 v157, 0xbf788fa5, v177
	v_add_f32_e32 v144, v148, v144
	v_fma_f32 v148, 0x3f62ad3f, v193, -v160
	v_add_f32_e32 v125, v139, v125
	v_fmamk_f32 v139, v187, 0xbf788fa5, v158
	v_add_f32_e32 v143, v157, v143
	v_add_f32_e32 v144, v148, v144
	v_fma_f32 v148, 0xbeb58ec6, v199, -v174
	v_add_f32_e32 v126, v139, v126
	v_fma_f32 v139, 0x3f62ad3f, v190, -v159
	v_fmac_f32_e32 v159, 0x3f62ad3f, v190
	v_add_f32_e32 v144, v148, v144
	v_add_f32_e32 v125, v139, v125
	v_fmamk_f32 v139, v193, 0x3f62ad3f, v160
	v_add_f32_e32 v143, v159, v143
	v_add_f32_e32 v126, v139, v126
	v_fma_f32 v139, 0xbeb58ec6, v196, -v173
	v_fmac_f32_e32 v173, 0xbeb58ec6, v196
	v_add_f32_e32 v125, v139, v125
	v_fmamk_f32 v139, v199, 0xbeb58ec6, v174
	v_add_f32_e32 v143, v173, v143
	v_add_f32_e32 v126, v139, v126
	v_fma_f32 v139, 0x3f62ad3f, v147, -v141
	v_fmac_f32_e32 v141, 0x3f62ad3f, v147
	v_fma_f32 v147, 0xbeb58ec6, v176, -v162
	v_add_f32_e32 v139, v139, v153
	v_fma_f32 v153, 0xbf3f9e67, v164, -v152
	v_add_f32_e32 v141, v141, v151
	v_fmac_f32_e32 v152, 0xbf3f9e67, v164
	v_add_f32_e32 v83, v147, v83
	v_add_f32_e32 v139, v153, v139
	v_mul_f32_e32 v153, 0xbf29c268, v182
	v_add_f32_e32 v141, v152, v141
	v_add_f32_e32 v83, v145, v83
	;; [unrolled: 1-line block ×3, first 2 shown]
	v_fmamk_f32 v154, v176, 0xbf3f9e67, v153
	v_fma_f32 v150, 0xbf3f9e67, v176, -v153
	v_add_f32_e32 v83, v146, v83
	v_fma_f32 v146, 0xbf3f9e67, v199, -v170
	v_add_f32_e32 v140, v154, v140
	v_mul_f32_e32 v154, 0x3f52af12, v184
	v_add_f32_e32 v142, v150, v142
	v_add_f32_e32 v146, v146, v83
	v_fma_f32 v171, 0x3f116cb1, v177, -v154
	v_fmac_f32_e32 v154, 0x3f116cb1, v177
	v_add_f32_e32 v139, v171, v139
	v_mul_f32_e32 v171, 0x3f52af12, v186
	v_add_f32_e32 v141, v154, v141
	v_fmamk_f32 v172, v187, 0x3f116cb1, v171
	v_fma_f32 v150, 0x3f116cb1, v187, -v171
	v_add_f32_e32 v140, v172, v140
	v_mul_f32_e32 v172, 0xbf6f5d39, v189
	v_add_f32_e32 v142, v150, v142
	v_fma_f32 v175, 0xbeb58ec6, v190, -v172
	v_fmac_f32_e32 v172, 0xbeb58ec6, v190
	v_add_f32_e32 v139, v175, v139
	v_mul_f32_e32 v175, 0xbf6f5d39, v192
	v_add_f32_e32 v141, v172, v141
	v_fmamk_f32 v178, v193, 0xbeb58ec6, v175
	v_fma_f32 v150, 0xbeb58ec6, v193, -v175
	v_add_f32_e32 v140, v178, v140
	v_mul_f32_e32 v178, 0x3f7e222b, v195
	v_add_f32_e32 v142, v150, v142
	v_fma_f32 v150, 0x3df6dbef, v199, -v179
	v_fma_f32 v180, 0x3df6dbef, v196, -v178
	v_fmac_f32_e32 v178, 0x3df6dbef, v196
	v_add_f32_e32 v142, v150, v142
	v_add_f32_e32 v139, v180, v139
	v_fmamk_f32 v180, v199, 0x3df6dbef, v179
	v_add_f32_e32 v141, v178, v141
	v_add_f32_e32 v140, v180, v140
	ds_write2_b64 v62, v[73:74], v[77:78] offset0:56 offset1:212
	ds_write2_b64 v65, v[79:80], v[125:126] offset0:48 offset1:204
	;; [unrolled: 1-line block ×5, first 2 shown]
	ds_write_b64 v127, v[71:72] offset:14976
	s_waitcnt lgkmcnt(0)
	s_barrier
	buffer_gl0_inv
	global_load_dwordx2 v[60:61], v[60:61], off offset:1888
	v_add_co_u32 v71, s1, 0x3f60, v68
	v_add_co_ci_u32_e64 v72, s1, 0, v69, s1
	global_load_dwordx2 v[75:76], v[71:72], off offset:1248
	v_add_co_u32 v71, s1, 0x4800, v68
	v_add_co_ci_u32_e64 v72, s1, 0, v69, s1
	s_clause 0x1
	global_load_dwordx2 v[77:78], v[71:72], off offset:288
	global_load_dwordx2 v[79:80], v[71:72], off offset:1536
	v_add_co_u32 v71, s1, 0x5000, v68
	v_add_co_ci_u32_e64 v72, s1, 0, v69, s1
	s_clause 0x1
	global_load_dwordx2 v[81:82], v[71:72], off offset:736
	global_load_dwordx2 v[125:126], v[71:72], off offset:1984
	v_add_co_u32 v71, s1, 0x5800, v68
	v_add_co_ci_u32_e64 v72, s1, 0, v69, s1
	v_add_co_u32 v141, s1, 0x6000, v68
	v_add_co_ci_u32_e64 v142, s1, 0, v69, s1
	global_load_dwordx2 v[139:140], v[71:72], off offset:1184
	v_add_co_u32 v145, s1, 0x6800, v68
	global_load_dwordx2 v[143:144], v[141:142], off offset:384
	v_add_co_ci_u32_e64 v146, s1, 0, v69, s1
	global_load_dwordx2 v[145:146], v[145:146], off offset:832
	ds_read2_b64 v[71:74], v127 offset1:156
	global_load_dwordx2 v[141:142], v[141:142], off offset:1632
	s_waitcnt vmcnt(9) lgkmcnt(0)
	v_mul_f32_e32 v67, v72, v61
	v_mul_f32_e32 v148, v71, v61
	v_fma_f32 v147, v71, v60, -v67
	v_add_co_u32 v71, s1, 0x7000, v68
	v_fmac_f32_e32 v148, v72, v60
	s_waitcnt vmcnt(8)
	v_mul_f32_e32 v60, v74, v76
	v_mul_f32_e32 v61, v73, v76
	v_add_co_ci_u32_e64 v72, s1, 0, v69, s1
	v_add_co_u32 v67, s1, 0x7800, v68
	v_fma_f32 v60, v73, v75, -v60
	v_fmac_f32_e32 v61, v74, v75
	s_clause 0x1
	global_load_dwordx2 v[75:76], v[71:72], off offset:32
	global_load_dwordx2 v[149:150], v[71:72], off offset:1280
	v_add_co_ci_u32_e64 v68, s1, 0, v69, s1
	ds_write2_b64 v127, v[147:148], v[60:61] offset1:156
	ds_read2_b64 v[71:74], v62 offset0:56 offset1:212
	global_load_dwordx2 v[67:68], v[67:68], off offset:480
	s_waitcnt vmcnt(10) lgkmcnt(0)
	v_mul_f32_e32 v60, v72, v78
	v_mul_f32_e32 v61, v71, v78
	s_waitcnt vmcnt(9)
	v_mul_f32_e32 v69, v74, v80
	v_mul_f32_e32 v78, v73, v80
	v_fma_f32 v60, v71, v77, -v60
	v_fmac_f32_e32 v61, v72, v77
	v_fma_f32 v77, v73, v79, -v69
	v_fmac_f32_e32 v78, v74, v79
	ds_read2_b64 v[71:74], v65 offset0:48 offset1:204
	s_waitcnt vmcnt(8) lgkmcnt(0)
	v_mul_f32_e32 v69, v72, v82
	v_mul_f32_e32 v80, v71, v82
	s_waitcnt vmcnt(7)
	v_mul_f32_e32 v82, v73, v126
	v_fma_f32 v79, v71, v81, -v69
	v_mul_f32_e32 v69, v74, v126
	v_fmac_f32_e32 v80, v72, v81
	v_fmac_f32_e32 v82, v74, v125
	v_fma_f32 v81, v73, v125, -v69
	ds_read2_b64 v[71:74], v64 offset0:40 offset1:196
	s_waitcnt vmcnt(6) lgkmcnt(0)
	v_mul_f32_e32 v69, v72, v140
	v_mul_f32_e32 v126, v71, v140
	s_waitcnt vmcnt(5)
	v_mul_f32_e32 v140, v73, v144
	v_fma_f32 v125, v71, v139, -v69
	v_mul_f32_e32 v69, v74, v144
	v_fmac_f32_e32 v126, v72, v139
	v_fmac_f32_e32 v140, v74, v143
	v_fma_f32 v139, v73, v143, -v69
	ds_read2_b64 v[71:74], v66 offset0:96 offset1:252
	s_waitcnt vmcnt(3) lgkmcnt(0)
	v_mul_f32_e32 v69, v72, v142
	v_mul_f32_e32 v144, v71, v142
	;; [unrolled: 1-line block ×3, first 2 shown]
	v_fma_f32 v143, v71, v141, -v69
	v_mul_f32_e32 v69, v74, v146
	v_fmac_f32_e32 v144, v72, v141
	v_fmac_f32_e32 v142, v74, v145
	v_fma_f32 v141, v73, v145, -v69
	ds_read2_b64 v[71:74], v63 offset0:24 offset1:180
	s_waitcnt vmcnt(2) lgkmcnt(0)
	v_mul_f32_e32 v69, v72, v76
	v_mul_f32_e32 v146, v71, v76
	v_fma_f32 v145, v71, v75, -v69
	v_fmac_f32_e32 v146, v72, v75
	s_waitcnt vmcnt(1)
	v_mul_f32_e32 v69, v74, v150
	v_mul_f32_e32 v72, v73, v150
	v_fma_f32 v71, v73, v149, -v69
	v_fmac_f32_e32 v72, v74, v149
	ds_read_b64 v[73:74], v127 offset:14976
	s_waitcnt vmcnt(0) lgkmcnt(0)
	v_mul_f32_e32 v75, v74, v68
	v_mul_f32_e32 v69, v73, v68
	v_fma_f32 v68, v73, v67, -v75
	v_fmac_f32_e32 v69, v74, v67
	ds_write2_b64 v62, v[60:61], v[77:78] offset0:56 offset1:212
	ds_write2_b64 v65, v[79:80], v[81:82] offset0:48 offset1:204
	;; [unrolled: 1-line block ×5, first 2 shown]
	ds_write_b64 v127, v[68:69] offset:14976
	s_waitcnt lgkmcnt(0)
	s_barrier
	buffer_gl0_inv
	ds_read2_b64 v[139:142], v127 offset1:156
	ds_read_b64 v[60:61], v127 offset:14976
	s_waitcnt lgkmcnt(0)
	v_sub_f32_e32 v67, v142, v61
	v_add_f32_e32 v68, v61, v142
	v_add_f32_e32 v69, v60, v141
	v_sub_f32_e32 v71, v141, v60
	v_mul_f32_e32 v72, 0xbeedf032, v67
	v_mul_f32_e32 v73, 0x3f62ad3f, v68
	;; [unrolled: 1-line block ×12, first 2 shown]
	v_fmamk_f32 v68, v69, 0x3f62ad3f, v72
	v_fmamk_f32 v80, v71, 0x3eedf032, v73
	v_fma_f32 v72, 0x3f62ad3f, v69, -v72
	v_fmac_f32_e32 v73, 0xbeedf032, v71
	v_fmamk_f32 v81, v69, 0x3f116cb1, v74
	v_fmamk_f32 v126, v71, 0x3f52af12, v75
	v_fma_f32 v74, 0x3f116cb1, v69, -v74
	v_fmac_f32_e32 v75, 0xbf52af12, v71
	v_fmamk_f32 v143, v69, 0x3df6dbef, v76
	v_fma_f32 v76, 0x3df6dbef, v69, -v76
	v_fmamk_f32 v144, v69, 0xbeb58ec6, v78
	v_fma_f32 v78, 0xbeb58ec6, v69, -v78
	;; [unrolled: 2-line block ×4, first 2 shown]
	v_fmamk_f32 v67, v71, 0x3f7e222b, v77
	v_fmac_f32_e32 v77, 0xbf7e222b, v71
	v_fmamk_f32 v69, v71, 0x3f6f5d39, v82
	v_fmac_f32_e32 v82, 0xbf6f5d39, v71
	;; [unrolled: 2-line block ×4, first 2 shown]
	v_add_f32_e32 v151, v139, v68
	v_add_f32_e32 v152, v140, v80
	v_add_f32_e32 v153, v139, v72
	v_add_f32_e32 v154, v140, v73
	v_add_f32_e32 v155, v139, v81
	v_add_f32_e32 v156, v140, v126
	v_add_f32_e32 v157, v139, v74
	v_add_f32_e32 v158, v140, v75
	v_add_f32_e32 v159, v139, v143
	v_add_f32_e32 v160, v140, v67
	v_add_f32_e32 v161, v139, v76
	v_add_f32_e32 v162, v140, v77
	v_add_f32_e32 v81, v139, v144
	v_add_f32_e32 v80, v140, v69
	v_add_f32_e32 v79, v139, v78
	v_add_f32_e32 v78, v140, v82
	v_add_f32_e32 v77, v139, v145
	v_add_f32_e32 v76, v140, v149
	v_add_f32_e32 v67, v139, v146
	v_add_f32_e32 v68, v140, v83
	v_add_f32_e32 v69, v139, v147
	v_add_f32_e32 v71, v140, v150
	v_add_f32_e32 v72, v139, v148
	v_add_f32_e32 v73, v140, v125
	v_add_f32_e32 v74, v139, v141
	v_add_f32_e32 v75, v140, v142
	ds_read2_b64 v[139:142], v62 offset0:56 offset1:212
	ds_read2_b64 v[143:146], v65 offset0:48 offset1:204
	;; [unrolled: 1-line block ×3, first 2 shown]
	s_waitcnt lgkmcnt(2)
	v_add_f32_e32 v74, v74, v139
	v_add_f32_e32 v75, v75, v140
	s_waitcnt lgkmcnt(0)
	v_add_f32_e32 v66, v149, v143
	v_sub_f32_e32 v163, v146, v148
	v_add_f32_e32 v164, v147, v145
	v_add_f32_e32 v74, v74, v141
	;; [unrolled: 1-line block ×4, first 2 shown]
	v_sub_f32_e32 v166, v145, v147
	v_add_f32_e32 v65, v74, v143
	v_add_f32_e32 v74, v75, v144
	v_sub_f32_e32 v75, v144, v150
	v_add_f32_e32 v82, v65, v145
	v_add_f32_e32 v83, v74, v146
	v_add_f32_e32 v74, v150, v144
	v_sub_f32_e32 v65, v143, v149
	ds_read2_b64 v[143:146], v64 offset0:40 offset1:196
	s_waitcnt lgkmcnt(0)
	v_add_f32_e32 v64, v82, v143
	v_add_f32_e32 v82, v83, v144
	;; [unrolled: 1-line block ×8, first 2 shown]
	ds_read2_b64 v[147:150], v63 offset0:24 offset1:180
	s_waitcnt lgkmcnt(0)
	s_barrier
	buffer_gl0_inv
	v_sub_f32_e32 v170, v140, v150
	v_add_f32_e32 v63, v64, v147
	v_add_f32_e32 v167, v149, v139
	v_sub_f32_e32 v174, v142, v148
	v_add_f32_e32 v64, v82, v148
	v_mul_f32_e32 v82, 0xbf52af12, v170
	v_add_f32_e32 v63, v63, v149
	v_add_f32_e32 v168, v150, v140
	;; [unrolled: 1-line block ×3, first 2 shown]
	v_mul_f32_e32 v125, 0xbf7e222b, v174
	v_sub_f32_e32 v169, v139, v149
	v_add_f32_e32 v60, v63, v60
	v_fmamk_f32 v63, v167, 0x3f116cb1, v82
	v_add_f32_e32 v172, v148, v142
	v_add_f32_e32 v64, v64, v150
	v_mul_f32_e32 v83, 0x3f116cb1, v168
	v_fmamk_f32 v126, v171, 0x3df6dbef, v125
	v_add_f32_e32 v63, v63, v151
	v_sub_f32_e32 v173, v141, v147
	v_add_f32_e32 v61, v64, v61
	v_fmamk_f32 v64, v169, 0x3f52af12, v83
	v_fma_f32 v82, 0x3f116cb1, v167, -v82
	v_add_f32_e32 v63, v126, v63
	v_mul_f32_e32 v126, 0x3df6dbef, v172
	v_fma_f32 v125, 0x3df6dbef, v171, -v125
	v_add_f32_e32 v64, v64, v152
	v_add_f32_e32 v82, v82, v153
	v_sub_f32_e32 v147, v144, v146
	v_fmamk_f32 v139, v173, 0x3f7e222b, v126
	v_add_f32_e32 v148, v145, v143
	v_sub_f32_e32 v145, v143, v145
	v_fmac_f32_e32 v83, 0xbf52af12, v169
	v_add_f32_e32 v82, v125, v82
	v_add_f32_e32 v64, v139, v64
	v_mul_f32_e32 v139, 0xbf6f5d39, v75
	v_fmac_f32_e32 v126, 0xbf7e222b, v173
	v_add_f32_e32 v83, v83, v154
	v_add_f32_e32 v146, v146, v144
	v_fmamk_f32 v140, v66, 0xbeb58ec6, v139
	v_fma_f32 v125, 0xbeb58ec6, v66, -v139
	v_add_f32_e32 v83, v126, v83
	v_mul_f32_e32 v139, 0xbf6f5d39, v170
	v_add_f32_e32 v63, v140, v63
	v_mul_f32_e32 v140, 0xbeb58ec6, v74
	v_add_f32_e32 v82, v125, v82
	v_fmamk_f32 v141, v65, 0x3f6f5d39, v140
	v_fmac_f32_e32 v140, 0xbf6f5d39, v65
	v_add_f32_e32 v64, v141, v64
	v_mul_f32_e32 v141, 0xbf29c268, v163
	v_add_f32_e32 v83, v140, v83
	v_mul_f32_e32 v140, 0xbeb58ec6, v168
	v_fmamk_f32 v142, v164, 0xbf3f9e67, v141
	v_fma_f32 v125, 0xbf3f9e67, v164, -v141
	v_mul_f32_e32 v141, 0xbe750f2a, v174
	v_add_f32_e32 v63, v142, v63
	v_mul_f32_e32 v142, 0xbf3f9e67, v165
	v_add_f32_e32 v82, v125, v82
	v_fmamk_f32 v143, v166, 0x3f29c268, v142
	v_fmac_f32_e32 v142, 0xbf29c268, v166
	v_add_f32_e32 v64, v143, v64
	v_mul_f32_e32 v143, 0xbe750f2a, v147
	v_add_f32_e32 v83, v142, v83
	v_fmamk_f32 v142, v171, 0xbf788fa5, v141
	v_fma_f32 v141, 0xbf788fa5, v171, -v141
	v_fmamk_f32 v144, v148, 0xbf788fa5, v143
	v_fma_f32 v125, 0xbf788fa5, v148, -v143
	v_add_f32_e32 v63, v144, v63
	v_mul_f32_e32 v144, 0xbf788fa5, v146
	v_add_f32_e32 v125, v125, v82
	v_fmamk_f32 v82, v167, 0xbeb58ec6, v139
	v_fma_f32 v139, 0xbeb58ec6, v167, -v139
	v_fmamk_f32 v149, v145, 0x3e750f2a, v144
	v_fmac_f32_e32 v144, 0xbe750f2a, v145
	v_add_f32_e32 v82, v82, v155
	v_add_f32_e32 v139, v139, v157
	;; [unrolled: 1-line block ×4, first 2 shown]
	v_fmamk_f32 v83, v169, 0x3f6f5d39, v140
	v_add_f32_e32 v82, v142, v82
	v_mul_f32_e32 v142, 0xbf788fa5, v172
	v_fmac_f32_e32 v140, 0xbf6f5d39, v169
	v_add_f32_e32 v139, v141, v139
	v_add_f32_e32 v83, v83, v156
	v_fmamk_f32 v143, v173, 0x3e750f2a, v142
	v_add_f32_e32 v140, v140, v158
	v_fmac_f32_e32 v142, 0xbe750f2a, v173
	v_mul_f32_e32 v158, 0x3f52af12, v147
	v_add_f32_e32 v83, v143, v83
	v_mul_f32_e32 v143, 0x3f29c268, v75
	v_add_f32_e32 v140, v142, v140
	v_fmamk_f32 v144, v66, 0xbf3f9e67, v143
	v_fma_f32 v141, 0xbf3f9e67, v66, -v143
	v_mul_f32_e32 v143, 0xbe750f2a, v170
	v_add_f32_e32 v82, v144, v82
	v_mul_f32_e32 v144, 0xbf3f9e67, v74
	v_add_f32_e32 v139, v141, v139
	v_fmamk_f32 v149, v65, 0xbf29c268, v144
	v_fmac_f32_e32 v144, 0x3f29c268, v65
	v_add_f32_e32 v83, v149, v83
	v_mul_f32_e32 v149, 0x3f7e222b, v163
	v_add_f32_e32 v140, v144, v140
	v_mul_f32_e32 v144, 0xbf788fa5, v168
	v_fmamk_f32 v150, v164, 0x3df6dbef, v149
	v_fma_f32 v141, 0x3df6dbef, v164, -v149
	v_mul_f32_e32 v149, 0x3f6f5d39, v174
	v_fmamk_f32 v142, v169, 0x3e750f2a, v144
	v_fmac_f32_e32 v144, 0xbe750f2a, v169
	v_add_f32_e32 v82, v150, v82
	v_mul_f32_e32 v150, 0x3df6dbef, v165
	v_add_f32_e32 v139, v141, v139
	v_add_f32_e32 v142, v142, v160
	;; [unrolled: 1-line block ×3, first 2 shown]
	v_fmamk_f32 v151, v166, 0xbf7e222b, v150
	v_fmac_f32_e32 v150, 0x3f7e222b, v166
	v_add_f32_e32 v83, v151, v83
	v_mul_f32_e32 v151, 0x3eedf032, v147
	v_add_f32_e32 v140, v150, v140
	v_fmamk_f32 v150, v171, 0xbeb58ec6, v149
	v_fma_f32 v149, 0xbeb58ec6, v171, -v149
	v_fma_f32 v141, 0x3f62ad3f, v148, -v151
	v_fmamk_f32 v152, v148, 0x3f62ad3f, v151
	v_add_f32_e32 v139, v141, v139
	v_fmamk_f32 v141, v167, 0xbf788fa5, v143
	v_add_f32_e32 v82, v152, v82
	v_mul_f32_e32 v152, 0x3f62ad3f, v146
	v_fma_f32 v143, 0xbf788fa5, v167, -v143
	v_add_f32_e32 v141, v141, v159
	v_mul_f32_e32 v159, 0x3f116cb1, v146
	v_fmamk_f32 v153, v145, 0xbeedf032, v152
	v_fmac_f32_e32 v152, 0x3eedf032, v145
	v_add_f32_e32 v143, v143, v161
	v_add_f32_e32 v141, v150, v141
	v_mul_f32_e32 v150, 0xbeb58ec6, v172
	v_add_f32_e32 v83, v153, v83
	v_add_f32_e32 v140, v152, v140
	;; [unrolled: 1-line block ×3, first 2 shown]
	v_mul_f32_e32 v161, 0x3f62ad3f, v168
	v_fmamk_f32 v151, v173, 0xbf6f5d39, v150
	v_fmac_f32_e32 v150, 0x3f6f5d39, v173
	v_fmamk_f32 v162, v169, 0xbeedf032, v161
	v_add_f32_e32 v142, v151, v142
	v_mul_f32_e32 v151, 0x3eedf032, v75
	v_add_f32_e32 v144, v150, v144
	v_fmac_f32_e32 v161, 0x3eedf032, v169
	v_add_f32_e32 v71, v162, v71
	v_fmamk_f32 v152, v66, 0x3f62ad3f, v151
	v_fma_f32 v149, 0x3f62ad3f, v66, -v151
	v_add_f32_e32 v73, v161, v73
	v_add_f32_e32 v141, v152, v141
	v_mul_f32_e32 v152, 0x3f62ad3f, v74
	v_add_f32_e32 v143, v149, v143
	v_fmamk_f32 v153, v65, 0xbeedf032, v152
	v_fmac_f32_e32 v152, 0x3eedf032, v65
	v_add_f32_e32 v142, v153, v142
	v_mul_f32_e32 v153, 0xbf52af12, v163
	v_add_f32_e32 v144, v152, v144
	v_fmamk_f32 v154, v164, 0x3f116cb1, v153
	v_fma_f32 v149, 0x3f116cb1, v164, -v153
	v_add_f32_e32 v141, v154, v141
	v_mul_f32_e32 v154, 0x3f116cb1, v165
	v_add_f32_e32 v143, v149, v143
	v_fmamk_f32 v155, v166, 0x3f52af12, v154
	v_fmac_f32_e32 v154, 0xbf52af12, v166
	v_add_f32_e32 v142, v155, v142
	v_mul_f32_e32 v155, 0xbf29c268, v147
	v_add_f32_e32 v144, v154, v144
	v_fma_f32 v149, 0xbf3f9e67, v148, -v155
	v_fmamk_f32 v156, v148, 0xbf3f9e67, v155
	v_add_f32_e32 v143, v149, v143
	v_mul_f32_e32 v149, 0x3f29c268, v170
	v_add_f32_e32 v141, v156, v141
	v_mul_f32_e32 v156, 0xbf3f9e67, v146
	v_fmamk_f32 v150, v167, 0xbf3f9e67, v149
	v_fma_f32 v149, 0xbf3f9e67, v167, -v149
	v_fmamk_f32 v157, v145, 0x3f29c268, v156
	v_fmac_f32_e32 v156, 0xbf29c268, v145
	v_add_f32_e32 v81, v150, v81
	v_mul_f32_e32 v150, 0xbf3f9e67, v168
	v_add_f32_e32 v79, v149, v79
	v_add_f32_e32 v144, v156, v144
	;; [unrolled: 1-line block ×3, first 2 shown]
	v_fmamk_f32 v151, v169, 0xbf29c268, v150
	v_fmac_f32_e32 v150, 0x3f29c268, v169
	v_add_f32_e32 v80, v151, v80
	v_mul_f32_e32 v151, 0x3eedf032, v174
	v_add_f32_e32 v78, v150, v78
	v_fmamk_f32 v152, v171, 0x3f62ad3f, v151
	v_fma_f32 v149, 0x3f62ad3f, v171, -v151
	v_add_f32_e32 v81, v152, v81
	v_mul_f32_e32 v152, 0x3f62ad3f, v172
	v_add_f32_e32 v79, v149, v79
	v_fmamk_f32 v153, v173, 0xbeedf032, v152
	v_fmac_f32_e32 v152, 0x3eedf032, v173
	v_add_f32_e32 v80, v153, v80
	v_mul_f32_e32 v153, 0xbf7e222b, v75
	v_add_f32_e32 v78, v152, v78
	v_fmamk_f32 v154, v66, 0x3df6dbef, v153
	v_fma_f32 v149, 0x3df6dbef, v66, -v153
	v_add_f32_e32 v81, v154, v81
	v_mul_f32_e32 v154, 0x3df6dbef, v74
	v_add_f32_e32 v79, v149, v79
	;; [unrolled: 10-line block ×3, first 2 shown]
	v_fmamk_f32 v157, v166, 0xbe750f2a, v156
	v_fmac_f32_e32 v156, 0x3e750f2a, v166
	v_add_f32_e32 v157, v157, v80
	v_fmamk_f32 v80, v148, 0x3f116cb1, v158
	v_add_f32_e32 v149, v156, v78
	v_fma_f32 v78, 0x3f116cb1, v148, -v158
	v_mul_f32_e32 v158, 0xbf6f5d39, v147
	v_add_f32_e32 v80, v80, v81
	v_fmamk_f32 v81, v145, 0xbf52af12, v159
	v_fmac_f32_e32 v159, 0x3f52af12, v145
	v_add_f32_e32 v78, v78, v79
	v_add_f32_e32 v81, v81, v157
	;; [unrolled: 1-line block ×3, first 2 shown]
	v_mul_f32_e32 v149, 0x3f7e222b, v170
	v_mul_f32_e32 v159, 0xbeb58ec6, v146
	v_fmamk_f32 v150, v167, 0x3df6dbef, v149
	v_fma_f32 v149, 0x3df6dbef, v167, -v149
	v_add_f32_e32 v77, v150, v77
	v_mul_f32_e32 v150, 0x3df6dbef, v168
	v_add_f32_e32 v67, v149, v67
	v_fmamk_f32 v151, v169, 0xbf7e222b, v150
	v_fmac_f32_e32 v150, 0x3f7e222b, v169
	v_mul_f32_e32 v169, 0xbf3f9e67, v172
	v_add_f32_e32 v76, v151, v76
	v_mul_f32_e32 v151, 0xbf52af12, v174
	v_add_f32_e32 v68, v150, v68
	v_fmamk_f32 v152, v171, 0x3f116cb1, v151
	v_fma_f32 v151, 0x3f116cb1, v171, -v151
	v_add_f32_e32 v77, v152, v77
	v_mul_f32_e32 v152, 0x3f116cb1, v172
	v_add_f32_e32 v67, v151, v67
	v_fmamk_f32 v153, v173, 0x3f52af12, v152
	v_fmac_f32_e32 v152, 0xbf52af12, v173
	v_add_f32_e32 v76, v153, v76
	v_mul_f32_e32 v153, 0x3e750f2a, v75
	v_mul_f32_e32 v75, 0x3f52af12, v75
	v_add_f32_e32 v68, v152, v68
	v_fmamk_f32 v154, v66, 0xbf788fa5, v153
	v_fma_f32 v149, 0xbf788fa5, v66, -v153
	v_add_f32_e32 v77, v154, v77
	v_mul_f32_e32 v154, 0xbf788fa5, v74
	v_mul_f32_e32 v74, 0x3f116cb1, v74
	v_add_f32_e32 v67, v149, v67
	v_fmamk_f32 v149, v66, 0x3f116cb1, v75
	v_fma_f32 v66, 0x3f116cb1, v66, -v75
	v_fmamk_f32 v155, v65, 0xbe750f2a, v154
	v_fmac_f32_e32 v154, 0x3e750f2a, v65
	v_fmamk_f32 v75, v65, 0xbf52af12, v74
	v_fmac_f32_e32 v74, 0x3f52af12, v65
	v_add_f32_e32 v76, v155, v76
	v_mul_f32_e32 v155, 0x3eedf032, v163
	v_add_f32_e32 v65, v154, v68
	v_fmamk_f32 v156, v164, 0x3f62ad3f, v155
	v_add_f32_e32 v77, v156, v77
	v_mul_f32_e32 v156, 0x3f62ad3f, v165
	v_fmamk_f32 v157, v166, 0xbeedf032, v156
	v_fmac_f32_e32 v156, 0x3eedf032, v166
	v_add_f32_e32 v157, v157, v76
	v_fmamk_f32 v76, v148, 0xbeb58ec6, v158
	v_add_f32_e32 v76, v76, v77
	v_fmamk_f32 v77, v145, 0x3f6f5d39, v159
	v_fmac_f32_e32 v159, 0xbf6f5d39, v145
	v_add_f32_e32 v77, v77, v157
	v_mul_f32_e32 v157, 0x3eedf032, v170
	v_fmamk_f32 v170, v173, 0x3f29c268, v169
	v_fmac_f32_e32 v169, 0xbf29c268, v173
	v_fmamk_f32 v160, v167, 0x3f62ad3f, v157
	v_fma_f32 v157, 0x3f62ad3f, v167, -v157
	v_mul_f32_e32 v167, 0xbf29c268, v174
	v_add_f32_e32 v71, v170, v71
	v_add_f32_e32 v73, v169, v73
	;; [unrolled: 1-line block ×4, first 2 shown]
	v_fmamk_f32 v168, v171, 0xbf3f9e67, v167
	v_fma_f32 v167, 0xbf3f9e67, v171, -v167
	v_add_f32_e32 v69, v168, v69
	v_add_f32_e32 v72, v167, v72
	;; [unrolled: 1-line block ×6, first 2 shown]
	v_fma_f32 v72, 0x3f62ad3f, v164, -v155
	v_mul_f32_e32 v74, 0xbeb58ec6, v165
	v_add_f32_e32 v149, v156, v65
	v_mul_f32_e32 v65, 0x3f7e222b, v147
	v_add_f32_e32 v67, v72, v67
	v_mul_f32_e32 v72, 0xbf6f5d39, v163
	v_fmamk_f32 v75, v166, 0x3f6f5d39, v74
	v_fmac_f32_e32 v74, 0xbf6f5d39, v166
	v_fmamk_f32 v73, v164, 0xbeb58ec6, v72
	v_fma_f32 v72, 0xbeb58ec6, v164, -v72
	v_add_f32_e32 v69, v75, v69
	v_mul_f32_e32 v75, 0x3df6dbef, v146
	v_add_f32_e32 v68, v73, v68
	v_add_f32_e32 v72, v72, v66
	;; [unrolled: 1-line block ×3, first 2 shown]
	v_fma_f32 v66, 0xbeb58ec6, v148, -v158
	v_fmamk_f32 v71, v148, 0x3df6dbef, v65
	v_fma_f32 v74, 0x3df6dbef, v148, -v65
	v_fmamk_f32 v146, v145, 0xbf7e222b, v75
	v_fmac_f32_e32 v75, 0x3f7e222b, v145
	v_add_f32_e32 v65, v66, v67
	v_add_f32_e32 v67, v71, v68
	;; [unrolled: 1-line block ×6, first 2 shown]
	ds_write2_b64 v70, v[60:61], v[63:64] offset1:1
	ds_write2_b64 v70, v[82:83], v[141:142] offset0:2 offset1:3
	ds_write2_b64 v70, v[80:81], v[76:77] offset0:4 offset1:5
	ds_write2_b64 v70, v[67:68], v[71:72] offset0:6 offset1:7
	ds_write2_b64 v70, v[65:66], v[78:79] offset0:8 offset1:9
	ds_write2_b64 v70, v[143:144], v[139:140] offset0:10 offset1:11
	ds_write_b64 v70, v[125:126] offset:96
	v_add_nc_u32_e32 v68, 0x1e00, v127
	v_add_nc_u32_e32 v69, 0x2800, v127
	;; [unrolled: 1-line block ×4, first 2 shown]
	s_waitcnt lgkmcnt(0)
	s_barrier
	buffer_gl0_inv
	ds_read2_b64 v[64:67], v127 offset1:156
	ds_read2_b64 v[60:63], v62 offset0:56 offset1:251
	ds_read2_b64 v[80:83], v68 offset0:54 offset1:210
	;; [unrolled: 1-line block ×5, first 2 shown]
	s_and_saveexec_b32 s1, vcc_lo
	s_cbranch_execz .LBB0_11
; %bb.10:
	ds_read_b64 v[125:126], v127 offset:3744
	ds_read_b64 v[123:124], v127 offset:7800
	;; [unrolled: 1-line block ×4, first 2 shown]
.LBB0_11:
	s_or_b32 exec_lo, exec_lo, s1
	s_waitcnt lgkmcnt(4)
	v_mul_f32_e32 v139, v17, v63
	v_mul_f32_e32 v17, v17, v62
	s_waitcnt lgkmcnt(3)
	v_mul_f32_e32 v140, v19, v81
	v_mul_f32_e32 v19, v19, v80
	s_waitcnt lgkmcnt(2)
	v_mul_f32_e32 v141, v118, v71
	v_fmac_f32_e32 v139, v16, v62
	v_fma_f32 v16, v16, v63, -v17
	v_fmac_f32_e32 v140, v18, v80
	v_fma_f32 v17, v18, v81, -v19
	s_waitcnt lgkmcnt(1)
	v_mul_f32_e32 v19, v13, v77
	v_mul_f32_e32 v13, v13, v76
	v_fmac_f32_e32 v141, v117, v70
	v_mul_f32_e32 v18, v118, v70
	v_mul_f32_e32 v62, v15, v83
	v_mul_f32_e32 v15, v15, v82
	v_fmac_f32_e32 v19, v12, v76
	v_fma_f32 v63, v12, v77, -v13
	s_waitcnt lgkmcnt(0)
	v_mul_f32_e32 v12, v116, v73
	v_mul_f32_e32 v70, v5, v79
	;; [unrolled: 1-line block ×3, first 2 shown]
	v_fma_f32 v18, v117, v71, -v18
	v_fmac_f32_e32 v62, v14, v82
	v_fma_f32 v13, v14, v83, -v15
	v_mul_f32_e32 v14, v116, v72
	v_mul_f32_e32 v71, v7, v69
	v_fmac_f32_e32 v12, v115, v72
	v_fmac_f32_e32 v70, v4, v78
	v_fma_f32 v72, v4, v79, -v5
	v_mul_f32_e32 v4, v7, v68
	v_mul_f32_e32 v7, v114, v75
	v_sub_f32_e32 v17, v65, v17
	v_fmac_f32_e32 v71, v6, v68
	v_mul_f32_e32 v5, v114, v74
	v_mul_f32_e32 v68, v1, v124
	v_mul_f32_e32 v1, v1, v123
	v_fma_f32 v69, v6, v69, -v4
	v_fmac_f32_e32 v7, v113, v74
	v_sub_f32_e32 v15, v64, v140
	v_sub_f32_e32 v74, v139, v141
	;; [unrolled: 1-line block ×3, first 2 shown]
	v_fma_f32 v6, v65, 2.0, -v17
	v_mul_f32_e32 v65, v112, v119
	v_fma_f32 v14, v115, v73, -v14
	v_fma_f32 v73, v113, v75, -v5
	v_fmac_f32_e32 v68, v0, v123
	v_fma_f32 v0, v0, v124, -v1
	v_mul_f32_e32 v1, v3, v122
	v_fma_f32 v5, v64, 2.0, -v15
	v_fma_f32 v4, v139, 2.0, -v74
	;; [unrolled: 1-line block ×3, first 2 shown]
	v_mul_f32_e32 v64, v3, v121
	v_mul_f32_e32 v75, v112, v120
	v_fma_f32 v76, v111, v120, -v65
	v_sub_f32_e32 v65, v19, v12
	v_sub_f32_e32 v77, v67, v13
	v_fmac_f32_e32 v1, v2, v121
	v_sub_f32_e32 v3, v5, v4
	v_sub_f32_e32 v4, v6, v16
	v_fma_f32 v2, v2, v122, -v64
	v_fmac_f32_e32 v75, v111, v119
	v_sub_f32_e32 v64, v66, v62
	v_fma_f32 v16, v19, 2.0, -v65
	v_fma_f32 v19, v67, 2.0, -v77
	v_sub_f32_e32 v71, v60, v71
	v_sub_f32_e32 v7, v70, v7
	;; [unrolled: 1-line block ×4, first 2 shown]
	v_add_f32_e32 v12, v15, v18
	v_sub_f32_e32 v62, v63, v14
	v_fma_f32 v18, v66, 2.0, -v64
	v_fma_f32 v66, v60, 2.0, -v71
	;; [unrolled: 1-line block ×5, first 2 shown]
	v_sub_f32_e32 v72, v125, v1
	v_sub_f32_e32 v2, v126, v2
	;; [unrolled: 1-line block ×5, first 2 shown]
	v_fma_f32 v63, v63, 2.0, -v62
	v_sub_f32_e32 v61, v70, v61
	v_add_f32_e32 v74, v71, v67
	v_fma_f32 v78, v125, 2.0, -v72
	v_fma_f32 v79, v126, 2.0, -v2
	;; [unrolled: 1-line block ×6, first 2 shown]
	v_sub_f32_e32 v17, v19, v63
	v_sub_f32_e32 v63, v77, v65
	v_fma_f32 v67, v70, 2.0, -v61
	v_sub_f32_e32 v75, v69, v7
	v_fma_f32 v76, v71, 2.0, -v74
	v_sub_f32_e32 v70, v78, v68
	v_sub_f32_e32 v71, v79, v0
	v_add_f32_e32 v0, v72, v73
	v_sub_f32_e32 v1, v2, v1
	v_sub_f32_e32 v16, v18, v16
	v_add_f32_e32 v62, v64, v62
	v_sub_f32_e32 v60, v66, v60
	v_fma_f32 v5, v5, 2.0, -v3
	v_fma_f32 v6, v6, 2.0, -v4
	;; [unrolled: 1-line block ×12, first 2 shown]
	s_barrier
	buffer_gl0_inv
	ds_write2_b64 v134, v[5:6], v[14:15] offset1:13
	ds_write2_b64 v134, v[3:4], v[12:13] offset0:26 offset1:39
	ds_write2_b64 v133, v[18:19], v[64:65] offset1:13
	ds_write2_b64 v133, v[16:17], v[62:63] offset0:26 offset1:39
	;; [unrolled: 2-line block ×3, first 2 shown]
	s_and_saveexec_b32 s1, vcc_lo
	s_cbranch_execz .LBB0_13
; %bb.12:
	v_mad_u16 v2, v129, 52, v130
	v_mov_b32_e32 v3, 3
	v_lshlrev_b32_sdwa v2, v3, v2 dst_sel:DWORD dst_unused:UNUSED_PAD src0_sel:DWORD src1_sel:WORD_0
	ds_write2_b64 v2, v[68:69], v[72:73] offset1:13
	ds_write2_b64 v2, v[70:71], v[0:1] offset0:26 offset1:39
.LBB0_13:
	s_or_b32 exec_lo, exec_lo, s1
	v_add_nc_u32_e32 v4, 0x1400, v127
	v_add_nc_u32_e32 v5, 0x2800, v127
	;; [unrolled: 1-line block ×5, first 2 shown]
	s_waitcnt lgkmcnt(0)
	s_barrier
	buffer_gl0_inv
	ds_read2_b64 v[0:3], v127 offset1:156
	ds_read2_b64 v[64:67], v4 offset0:36 offset1:192
	ds_read2_b64 v[60:63], v5 offset0:72 offset1:228
	;; [unrolled: 1-line block ×4, first 2 shown]
	ds_read2_b64 v[12:15], v13 offset1:156
	s_and_saveexec_b32 s1, s0
	s_cbranch_execz .LBB0_15
; %bb.14:
	ds_read_b64 v[68:69], v127 offset:4992
	ds_read_b64 v[72:73], v127 offset:10400
	;; [unrolled: 1-line block ×3, first 2 shown]
.LBB0_15:
	s_or_b32 exec_lo, exec_lo, s1
	s_waitcnt lgkmcnt(4)
	v_mul_f32_e32 v74, v49, v65
	v_mul_f32_e32 v49, v49, v64
	s_waitcnt lgkmcnt(3)
	v_mul_f32_e32 v75, v51, v61
	v_mul_f32_e32 v51, v51, v60
	s_waitcnt lgkmcnt(0)
	v_fmac_f32_e32 v74, v48, v64
	v_fma_f32 v48, v48, v65, -v49
	v_mul_f32_e32 v49, v41, v67
	v_mul_f32_e32 v41, v41, v66
	v_fmac_f32_e32 v75, v50, v60
	v_fma_f32 v50, v50, v61, -v51
	v_mul_f32_e32 v51, v43, v63
	v_fmac_f32_e32 v49, v40, v66
	v_mul_f32_e32 v43, v43, v62
	v_fma_f32 v40, v40, v67, -v41
	v_mul_f32_e32 v41, v37, v17
	v_fmac_f32_e32 v51, v42, v62
	v_mul_f32_e32 v37, v37, v16
	;; [unrolled: 4-line block ×4, first 2 shown]
	v_fma_f32 v25, v38, v13, -v16
	v_mul_f32_e32 v13, v27, v14
	v_mul_f32_e32 v38, v27, v15
	v_add_f32_e32 v16, v1, v48
	v_fma_f32 v39, v24, v19, -v12
	v_add_f32_e32 v12, v74, v75
	v_fma_f32 v60, v26, v15, -v13
	v_add_f32_e32 v13, v48, v50
	v_fmac_f32_e32 v38, v26, v14
	v_add_f32_e32 v14, v0, v74
	v_fma_f32 v0, -0.5, v12, v0
	v_sub_f32_e32 v15, v48, v50
	v_fma_f32 v1, -0.5, v13, v1
	v_sub_f32_e32 v17, v74, v75
	v_add_f32_e32 v12, v14, v75
	v_add_f32_e32 v13, v16, v50
	v_fmamk_f32 v14, v15, 0xbf5db3d7, v0
	v_fmac_f32_e32 v0, 0x3f5db3d7, v15
	v_add_f32_e32 v16, v49, v51
	v_fmamk_f32 v15, v17, 0x3f5db3d7, v1
	v_fmac_f32_e32 v1, 0xbf5db3d7, v17
	v_add_f32_e32 v17, v40, v42
	v_fmac_f32_e32 v37, v24, v18
	v_add_f32_e32 v18, v2, v49
	v_fma_f32 v2, -0.5, v16, v2
	v_sub_f32_e32 v19, v40, v42
	v_add_f32_e32 v24, v3, v40
	v_fmac_f32_e32 v3, -0.5, v17
	v_sub_f32_e32 v26, v49, v51
	v_add_f32_e32 v16, v18, v51
	v_fmamk_f32 v18, v19, 0xbf5db3d7, v2
	v_fmac_f32_e32 v2, 0x3f5db3d7, v19
	v_add_f32_e32 v17, v24, v42
	v_add_f32_e32 v24, v41, v43
	v_fmamk_f32 v19, v26, 0x3f5db3d7, v3
	v_add_f32_e32 v27, v4, v41
	v_fmac_f32_e32 v3, 0xbf5db3d7, v26
	v_add_f32_e32 v26, v36, v25
	v_fma_f32 v4, -0.5, v24, v4
	v_sub_f32_e32 v40, v36, v25
	v_add_f32_e32 v24, v27, v43
	v_add_f32_e32 v27, v5, v36
	v_fma_f32 v5, -0.5, v26, v5
	v_sub_f32_e32 v36, v41, v43
	v_fmamk_f32 v26, v40, 0xbf5db3d7, v4
	v_fmac_f32_e32 v4, 0x3f5db3d7, v40
	v_add_f32_e32 v25, v27, v25
	v_add_f32_e32 v40, v37, v38
	v_fmamk_f32 v27, v36, 0x3f5db3d7, v5
	v_fmac_f32_e32 v5, 0xbf5db3d7, v36
	v_add_f32_e32 v36, v39, v60
	v_add_f32_e32 v41, v6, v37
	v_fma_f32 v6, -0.5, v40, v6
	v_sub_f32_e32 v40, v39, v60
	v_add_f32_e32 v39, v7, v39
	v_fmac_f32_e32 v7, -0.5, v36
	v_sub_f32_e32 v42, v37, v38
	v_add_f32_e32 v36, v41, v38
	v_fmamk_f32 v38, v40, 0xbf5db3d7, v6
	v_fmac_f32_e32 v6, 0x3f5db3d7, v40
	v_add_f32_e32 v37, v39, v60
	v_fmamk_f32 v39, v42, 0x3f5db3d7, v7
	v_fmac_f32_e32 v7, 0xbf5db3d7, v42
	s_barrier
	buffer_gl0_inv
	ds_write2_b64 v138, v[12:13], v[14:15] offset1:52
	ds_write_b64 v138, v[0:1] offset:832
	ds_write2_b64 v137, v[16:17], v[18:19] offset1:52
	ds_write_b64 v137, v[2:3] offset:832
	;; [unrolled: 2-line block ×4, first 2 shown]
	s_and_saveexec_b32 s1, s0
	s_cbranch_execz .LBB0_17
; %bb.16:
	v_mul_f32_e32 v0, v9, v72
	v_mul_f32_e32 v1, v11, v70
	;; [unrolled: 1-line block ×4, first 2 shown]
	v_mov_b32_e32 v7, 3
	v_fma_f32 v3, v8, v73, -v0
	v_fma_f32 v5, v10, v71, -v1
	v_fmac_f32_e32 v2, v8, v72
	v_fmac_f32_e32 v4, v10, v70
	v_add_f32_e32 v0, v5, v3
	v_sub_f32_e32 v9, v3, v5
	v_add_f32_e32 v6, v4, v2
	v_sub_f32_e32 v8, v2, v4
	v_add_f32_e32 v10, v68, v2
	v_fma_f32 v1, -0.5, v0, v69
	v_fma_f32 v0, -0.5, v6, v68
	v_lshlrev_b32_sdwa v6, v7, v131 dst_sel:DWORD dst_unused:UNUSED_PAD src0_sel:DWORD src1_sel:WORD_0
	v_add_f32_e32 v7, v3, v69
	v_fmamk_f32 v3, v8, 0xbf5db3d7, v1
	v_fmac_f32_e32 v1, 0x3f5db3d7, v8
	v_fmamk_f32 v2, v9, 0x3f5db3d7, v0
	v_add_f32_e32 v4, v4, v10
	v_add_f32_e32 v5, v5, v7
	v_add_nc_u32_e32 v7, 0x3800, v6
	v_fmac_f32_e32 v0, 0xbf5db3d7, v9
	ds_write2_b64 v7, v[4:5], v[0:1] offset0:80 offset1:132
	ds_write_b64 v6, v[2:3] offset:15808
.LBB0_17:
	s_or_b32 exec_lo, exec_lo, s1
	s_waitcnt lgkmcnt(0)
	s_barrier
	buffer_gl0_inv
	ds_read2_b64 v[13:16], v127 offset1:156
	v_add_nc_u32_e32 v6, 0x800, v127
	v_add_nc_u32_e32 v5, 0x1200, v127
	ds_read2_b64 v[7:10], v6 offset0:56 offset1:212
	ds_read2_b64 v[24:27], v5 offset0:48 offset1:204
	v_add_nc_u32_e32 v4, 0x1c00, v127
	v_add_nc_u32_e32 v3, 0x2400, v127
	;; [unrolled: 1-line block ×3, first 2 shown]
	ds_read_b64 v[0:1], v127 offset:14976
	ds_read2_b64 v[36:39], v4 offset0:40 offset1:196
	ds_read2_b64 v[40:43], v3 offset0:96 offset1:252
	;; [unrolled: 1-line block ×3, first 2 shown]
	s_mov_b32 s0, 0xfc7729e9
	s_mov_b32 s1, 0x3f402864
	s_mul_i32 s2, s9, 0x4e0
	s_mul_hi_u32 s3, s8, 0x4e0
	s_add_i32 s2, s3, s2
	s_mul_i32 s3, s8, 0x4e0
	s_waitcnt lgkmcnt(6)
	v_mul_f32_e32 v17, v57, v16
	v_mul_f32_e32 v11, v57, v15
	v_fmac_f32_e32 v17, v56, v15
	v_fma_f32 v15, v56, v16, -v11
	s_waitcnt lgkmcnt(5)
	v_mul_f32_e32 v16, v59, v8
	v_mul_f32_e32 v12, v59, v7
	;; [unrolled: 1-line block ×4, first 2 shown]
	s_waitcnt lgkmcnt(4)
	v_mul_f32_e32 v53, v55, v25
	v_mul_f32_e32 v55, v55, v24
	v_fmac_f32_e32 v16, v58, v7
	v_fma_f32 v56, v58, v8, -v12
	v_fma_f32 v19, v52, v10, -v19
	v_fmac_f32_e32 v53, v54, v24
	v_fma_f32 v24, v54, v25, -v55
	v_add_f32_e32 v10, v13, v17
	v_add_f32_e32 v25, v14, v15
	v_mul_f32_e32 v11, v33, v27
	v_mul_f32_e32 v33, v33, v26
	v_fmac_f32_e32 v18, v52, v9
	v_add_f32_e32 v10, v10, v16
	v_add_f32_e32 v25, v25, v56
	s_waitcnt lgkmcnt(2)
	v_mul_f32_e32 v8, v21, v39
	v_fma_f32 v12, v32, v27, -v33
	v_mul_f32_e32 v21, v21, v38
	v_add_f32_e32 v27, v10, v18
	v_add_f32_e32 v25, v25, v19
	v_fmac_f32_e32 v11, v32, v26
	v_mul_f32_e32 v7, v35, v37
	v_mul_f32_e32 v9, v35, v36
	v_fmac_f32_e32 v8, v20, v38
	s_waitcnt lgkmcnt(1)
	v_mul_f32_e32 v26, v23, v41
	v_fma_f32 v10, v20, v39, -v21
	v_mul_f32_e32 v20, v23, v40
	v_add_f32_e32 v21, v27, v53
	v_add_f32_e32 v23, v25, v24
	v_fmac_f32_e32 v7, v34, v36
	v_fma_f32 v9, v34, v37, -v9
	v_fmac_f32_e32 v26, v22, v40
	v_add_f32_e32 v21, v21, v11
	v_add_f32_e32 v23, v23, v12
	v_mul_f32_e32 v25, v45, v43
	v_fma_f32 v20, v22, v41, -v20
	v_mul_f32_e32 v22, v45, v42
	v_add_f32_e32 v21, v21, v7
	v_add_f32_e32 v23, v23, v9
	v_mul_f32_e32 v34, v31, v0
	v_fmac_f32_e32 v25, v44, v42
	s_waitcnt lgkmcnt(0)
	v_mul_f32_e32 v27, v47, v49
	v_add_f32_e32 v21, v21, v8
	v_add_f32_e32 v23, v23, v10
	v_fma_f32 v22, v44, v43, -v22
	v_mul_f32_e32 v32, v47, v48
	v_mul_f32_e32 v31, v31, v1
	v_add_f32_e32 v21, v21, v26
	v_add_f32_e32 v23, v23, v20
	v_fma_f32 v1, v30, v1, -v34
	v_fmac_f32_e32 v27, v46, v48
	v_mul_f32_e32 v33, v29, v51
	v_fma_f32 v32, v46, v49, -v32
	v_mul_f32_e32 v29, v29, v50
	v_add_f32_e32 v21, v21, v25
	v_add_f32_e32 v23, v23, v22
	v_fmac_f32_e32 v31, v30, v0
	v_sub_f32_e32 v30, v15, v1
	v_fmac_f32_e32 v33, v28, v50
	v_fma_f32 v28, v28, v51, -v29
	v_add_f32_e32 v0, v21, v27
	v_add_f32_e32 v21, v23, v32
	;; [unrolled: 1-line block ×3, first 2 shown]
	v_mul_f32_e32 v29, 0xbeedf032, v30
	v_add_f32_e32 v15, v15, v1
	v_sub_f32_e32 v52, v56, v28
	v_add_f32_e32 v21, v21, v28
	v_add_f32_e32 v0, v0, v33
	v_fmamk_f32 v34, v23, 0x3f62ad3f, v29
	v_sub_f32_e32 v17, v17, v31
	v_mul_f32_e32 v35, 0x3f62ad3f, v15
	v_add_f32_e32 v1, v21, v1
	v_mul_f32_e32 v36, 0x3f116cb1, v15
	v_add_f32_e32 v21, v13, v34
	v_mul_f32_e32 v34, 0xbf52af12, v30
	v_mul_f32_e32 v39, 0xbf7e222b, v30
	v_mul_f32_e32 v41, 0x3df6dbef, v15
	v_mul_f32_e32 v42, 0xbf6f5d39, v30
	v_mul_f32_e32 v45, 0xbeb58ec6, v15
	v_mul_f32_e32 v47, 0xbf29c268, v30
	v_mul_f32_e32 v48, 0xbf3f9e67, v15
	v_mul_f32_e32 v30, 0xbe750f2a, v30
	v_mul_f32_e32 v15, 0xbf788fa5, v15
	v_add_f32_e32 v55, v16, v33
	v_mul_f32_e32 v57, 0xbf52af12, v52
	v_add_f32_e32 v28, v56, v28
	v_add_f32_e32 v0, v0, v31
	v_fmamk_f32 v31, v17, 0x3eedf032, v35
	v_fma_f32 v29, 0x3f62ad3f, v23, -v29
	v_fmac_f32_e32 v35, 0xbeedf032, v17
	v_fmamk_f32 v37, v23, 0x3f116cb1, v34
	v_fmamk_f32 v38, v17, 0x3f52af12, v36
	v_fma_f32 v34, 0x3f116cb1, v23, -v34
	v_fmac_f32_e32 v36, 0xbf52af12, v17
	v_fmamk_f32 v40, v23, 0x3df6dbef, v39
	;; [unrolled: 4-line block ×5, first 2 shown]
	v_fmamk_f32 v54, v17, 0x3e750f2a, v15
	v_fma_f32 v23, 0xbf788fa5, v23, -v30
	v_fmac_f32_e32 v15, 0xbe750f2a, v17
	v_sub_f32_e32 v16, v16, v33
	v_fmamk_f32 v17, v55, 0x3f116cb1, v57
	v_mul_f32_e32 v30, 0x3f116cb1, v28
	v_add_f32_e32 v31, v14, v31
	v_add_f32_e32 v29, v13, v29
	;; [unrolled: 1-line block ×24, first 2 shown]
	v_fmamk_f32 v17, v16, 0x3f52af12, v30
	v_mul_f32_e32 v21, 0xbf6f5d39, v52
	v_fma_f32 v23, 0x3f116cb1, v55, -v57
	v_fmac_f32_e32 v30, 0xbf52af12, v16
	v_mul_f32_e32 v54, 0xbeb58ec6, v28
	v_add_f32_e32 v17, v17, v31
	v_fmamk_f32 v31, v55, 0xbeb58ec6, v21
	v_add_f32_e32 v23, v23, v29
	v_add_f32_e32 v29, v30, v35
	v_fmamk_f32 v30, v16, 0x3f6f5d39, v54
	v_mul_f32_e32 v35, 0xbe750f2a, v52
	v_add_f32_e32 v31, v31, v37
	v_fma_f32 v21, 0xbeb58ec6, v55, -v21
	v_fmac_f32_e32 v54, 0xbf6f5d39, v16
	v_add_f32_e32 v30, v30, v38
	v_fmamk_f32 v37, v55, 0xbf788fa5, v35
	v_mul_f32_e32 v38, 0xbf788fa5, v28
	v_add_f32_e32 v21, v21, v34
	v_add_f32_e32 v34, v54, v36
	v_mul_f32_e32 v36, 0x3f29c268, v52
	v_add_f32_e32 v37, v37, v40
	v_fmamk_f32 v40, v16, 0x3e750f2a, v38
	v_fmac_f32_e32 v38, 0xbe750f2a, v16
	v_mul_f32_e32 v56, 0xbf3f9e67, v28
	v_fma_f32 v35, 0xbf788fa5, v55, -v35
	v_fmamk_f32 v54, v55, 0xbf3f9e67, v36
	v_add_f32_e32 v40, v40, v43
	v_add_f32_e32 v38, v38, v41
	v_fmamk_f32 v41, v16, 0xbf29c268, v56
	v_mul_f32_e32 v43, 0x3f7e222b, v52
	v_add_f32_e32 v35, v35, v39
	v_add_f32_e32 v39, v54, v44
	v_fma_f32 v36, 0xbf3f9e67, v55, -v36
	v_mul_f32_e32 v44, 0x3df6dbef, v28
	v_add_f32_e32 v41, v41, v46
	v_fmamk_f32 v46, v55, 0x3df6dbef, v43
	v_mul_f32_e32 v52, 0x3eedf032, v52
	v_fma_f32 v43, 0x3df6dbef, v55, -v43
	v_add_f32_e32 v36, v36, v42
	v_fmamk_f32 v42, v16, 0xbf7e222b, v44
	v_add_f32_e32 v46, v46, v49
	v_fmac_f32_e32 v44, 0x3f7e222b, v16
	v_fmamk_f32 v49, v55, 0x3f62ad3f, v52
	v_add_f32_e32 v43, v43, v47
	v_sub_f32_e32 v47, v19, v32
	v_add_f32_e32 v42, v42, v50
	v_mul_f32_e32 v28, 0x3f62ad3f, v28
	v_add_f32_e32 v44, v44, v48
	v_add_f32_e32 v48, v49, v51
	;; [unrolled: 1-line block ×3, first 2 shown]
	v_mul_f32_e32 v51, 0xbf7e222b, v47
	v_add_f32_e32 v19, v19, v32
	v_fmac_f32_e32 v56, 0x3f29c268, v16
	v_fmamk_f32 v49, v16, 0xbeedf032, v28
	v_fma_f32 v32, 0x3f62ad3f, v55, -v52
	v_fmac_f32_e32 v28, 0x3eedf032, v16
	v_sub_f32_e32 v16, v18, v27
	v_fmamk_f32 v18, v50, 0x3df6dbef, v51
	v_mul_f32_e32 v27, 0x3df6dbef, v19
	v_add_f32_e32 v33, v49, v33
	v_add_f32_e32 v13, v32, v13
	;; [unrolled: 1-line block ×4, first 2 shown]
	v_fmamk_f32 v18, v16, 0x3f7e222b, v27
	v_mul_f32_e32 v28, 0xbe750f2a, v47
	v_fma_f32 v32, 0x3df6dbef, v50, -v51
	v_fmac_f32_e32 v27, 0xbf7e222b, v16
	v_mul_f32_e32 v49, 0xbf788fa5, v19
	v_add_f32_e32 v17, v18, v17
	v_fmamk_f32 v18, v50, 0xbf788fa5, v28
	v_add_f32_e32 v23, v32, v23
	v_add_f32_e32 v27, v27, v29
	v_fmamk_f32 v29, v16, 0x3e750f2a, v49
	v_mul_f32_e32 v32, 0x3f6f5d39, v47
	v_fma_f32 v28, 0xbf788fa5, v50, -v28
	v_fmac_f32_e32 v49, 0xbe750f2a, v16
	v_add_f32_e32 v18, v18, v31
	v_add_f32_e32 v29, v29, v30
	v_fmamk_f32 v30, v50, 0xbeb58ec6, v32
	v_mul_f32_e32 v31, 0xbeb58ec6, v19
	v_add_f32_e32 v21, v28, v21
	v_add_f32_e32 v28, v49, v34
	v_mul_f32_e32 v34, 0x3eedf032, v47
	v_add_f32_e32 v30, v30, v37
	v_fmamk_f32 v37, v16, 0xbf6f5d39, v31
	v_fma_f32 v32, 0xbeb58ec6, v50, -v32
	v_fmac_f32_e32 v31, 0x3f6f5d39, v16
	v_fmamk_f32 v49, v50, 0x3f62ad3f, v34
	v_mul_f32_e32 v51, 0x3f62ad3f, v19
	v_add_f32_e32 v37, v37, v40
	v_add_f32_e32 v32, v32, v35
	;; [unrolled: 1-line block ×4, first 2 shown]
	v_fmamk_f32 v38, v16, 0xbeedf032, v51
	v_mul_f32_e32 v39, 0xbf52af12, v47
	v_fma_f32 v34, 0x3f62ad3f, v50, -v34
	v_mul_f32_e32 v40, 0x3f116cb1, v19
	v_mul_f32_e32 v47, 0xbf29c268, v47
	v_add_f32_e32 v38, v38, v41
	v_fmamk_f32 v41, v50, 0x3f116cb1, v39
	v_add_f32_e32 v34, v34, v36
	v_fmamk_f32 v36, v16, 0x3f52af12, v40
	v_fma_f32 v39, 0x3f116cb1, v50, -v39
	v_fmac_f32_e32 v40, 0xbf52af12, v16
	v_mul_f32_e32 v19, 0xbf3f9e67, v19
	v_fmac_f32_e32 v51, 0x3eedf032, v16
	v_add_f32_e32 v36, v36, v42
	v_fmamk_f32 v42, v50, 0xbf3f9e67, v47
	v_add_f32_e32 v39, v39, v43
	v_sub_f32_e32 v43, v24, v22
	v_add_f32_e32 v22, v24, v22
	v_add_f32_e32 v41, v41, v46
	;; [unrolled: 1-line block ×4, first 2 shown]
	v_fmamk_f32 v44, v16, 0x3f29c268, v19
	v_add_f32_e32 v46, v53, v25
	v_mul_f32_e32 v48, 0xbf6f5d39, v43
	v_fma_f32 v24, 0xbf3f9e67, v50, -v47
	v_fmac_f32_e32 v19, 0xbf29c268, v16
	v_sub_f32_e32 v16, v53, v25
	v_mul_f32_e32 v47, 0xbeb58ec6, v22
	v_fmamk_f32 v25, v46, 0xbeb58ec6, v48
	v_add_f32_e32 v13, v24, v13
	v_add_f32_e32 v14, v19, v14
	v_mul_f32_e32 v24, 0x3f29c268, v43
	v_fmamk_f32 v19, v16, 0x3f6f5d39, v47
	v_add_f32_e32 v33, v44, v33
	v_add_f32_e32 v15, v25, v15
	v_fma_f32 v25, 0xbeb58ec6, v46, -v48
	v_fmac_f32_e32 v47, 0xbf6f5d39, v16
	v_mul_f32_e32 v44, 0xbf3f9e67, v22
	v_add_f32_e32 v17, v19, v17
	v_fmamk_f32 v19, v46, 0xbf3f9e67, v24
	v_add_f32_e32 v23, v25, v23
	v_add_f32_e32 v25, v47, v27
	v_fmamk_f32 v27, v16, 0xbf29c268, v44
	v_mul_f32_e32 v47, 0x3eedf032, v43
	v_add_f32_e32 v18, v19, v18
	v_fma_f32 v19, 0xbf3f9e67, v46, -v24
	v_fmac_f32_e32 v44, 0x3f29c268, v16
	v_add_f32_e32 v24, v27, v29
	v_fmamk_f32 v27, v46, 0x3f62ad3f, v47
	v_mul_f32_e32 v29, 0x3f62ad3f, v22
	v_add_f32_e32 v19, v19, v21
	v_add_f32_e32 v21, v44, v28
	v_mul_f32_e32 v28, 0xbf7e222b, v43
	v_add_f32_e32 v27, v27, v30
	v_fmamk_f32 v30, v16, 0xbeedf032, v29
	v_fma_f32 v44, 0x3f62ad3f, v46, -v47
	v_fmac_f32_e32 v29, 0x3eedf032, v16
	v_fmamk_f32 v47, v46, 0x3df6dbef, v28
	v_mul_f32_e32 v48, 0x3df6dbef, v22
	v_add_f32_e32 v30, v30, v37
	v_add_f32_e32 v32, v44, v32
	;; [unrolled: 1-line block ×4, first 2 shown]
	v_fmamk_f32 v35, v16, 0x3f7e222b, v48
	v_mul_f32_e32 v37, 0x3e750f2a, v43
	v_fma_f32 v28, 0x3df6dbef, v46, -v28
	v_mul_f32_e32 v44, 0xbf788fa5, v22
	v_mul_f32_e32 v43, 0x3f52af12, v43
	v_add_f32_e32 v35, v35, v38
	v_fmamk_f32 v38, v46, 0xbf788fa5, v37
	v_add_f32_e32 v28, v28, v34
	v_fmamk_f32 v34, v16, 0xbe750f2a, v44
	v_fma_f32 v37, 0xbf788fa5, v46, -v37
	v_fmac_f32_e32 v44, 0x3e750f2a, v16
	v_mul_f32_e32 v22, 0x3f116cb1, v22
	v_fmac_f32_e32 v48, 0xbf7e222b, v16
	v_add_f32_e32 v34, v34, v36
	v_fmamk_f32 v36, v46, 0x3f116cb1, v43
	v_add_f32_e32 v37, v37, v39
	v_sub_f32_e32 v39, v12, v20
	v_add_f32_e32 v40, v44, v40
	v_add_f32_e32 v12, v12, v20
	;; [unrolled: 1-line block ×4, first 2 shown]
	v_mul_f32_e32 v44, 0xbf29c268, v39
	v_add_f32_e32 v38, v38, v41
	v_fmamk_f32 v41, v16, 0xbf52af12, v22
	v_fma_f32 v20, 0x3f116cb1, v46, -v43
	v_fmac_f32_e32 v22, 0x3f52af12, v16
	v_sub_f32_e32 v11, v11, v26
	v_fmamk_f32 v16, v42, 0xbf3f9e67, v44
	v_mul_f32_e32 v26, 0xbf3f9e67, v12
	v_add_f32_e32 v13, v20, v13
	v_mul_f32_e32 v20, 0x3f7e222b, v39
	v_add_f32_e32 v33, v41, v33
	v_add_f32_e32 v15, v16, v15
	v_fmamk_f32 v16, v11, 0x3f29c268, v26
	v_add_f32_e32 v14, v22, v14
	v_fma_f32 v22, 0xbf3f9e67, v42, -v44
	v_fmac_f32_e32 v26, 0xbf29c268, v11
	v_mul_f32_e32 v41, 0x3df6dbef, v12
	v_add_f32_e32 v16, v16, v17
	v_fmamk_f32 v17, v42, 0x3df6dbef, v20
	v_add_f32_e32 v22, v22, v23
	v_add_f32_e32 v23, v26, v25
	v_fmamk_f32 v25, v11, 0xbf7e222b, v41
	v_mul_f32_e32 v26, 0xbf52af12, v39
	v_add_f32_e32 v17, v17, v18
	v_fma_f32 v18, 0x3df6dbef, v42, -v20
	v_fmac_f32_e32 v41, 0x3f7e222b, v11
	v_add_f32_e32 v45, v56, v45
	v_add_f32_e32 v20, v25, v24
	v_fmamk_f32 v24, v42, 0x3f116cb1, v26
	v_mul_f32_e32 v25, 0x3f116cb1, v12
	v_add_f32_e32 v18, v18, v19
	v_add_f32_e32 v19, v41, v21
	v_mul_f32_e32 v21, 0x3e750f2a, v39
	v_fma_f32 v26, 0x3f116cb1, v42, -v26
	v_add_f32_e32 v45, v51, v45
	v_add_f32_e32 v24, v24, v27
	v_fmamk_f32 v27, v11, 0x3f52af12, v25
	v_fmac_f32_e32 v25, 0xbf52af12, v11
	v_fmamk_f32 v41, v42, 0xbf788fa5, v21
	v_mul_f32_e32 v43, 0xbf788fa5, v12
	v_add_f32_e32 v26, v26, v32
	v_fma_f32 v21, 0xbf788fa5, v42, -v21
	v_mul_f32_e32 v32, 0x3f62ad3f, v12
	v_add_f32_e32 v45, v48, v45
	v_add_f32_e32 v27, v27, v30
	;; [unrolled: 1-line block ×4, first 2 shown]
	v_fmamk_f32 v30, v11, 0xbe750f2a, v43
	v_mul_f32_e32 v31, 0x3eedf032, v39
	v_fmac_f32_e32 v43, 0x3e750f2a, v11
	v_add_f32_e32 v21, v21, v28
	v_fmamk_f32 v28, v11, 0xbeedf032, v32
	v_mul_f32_e32 v39, 0xbf6f5d39, v39
	v_add_f32_e32 v30, v30, v35
	v_fmamk_f32 v35, v42, 0x3f62ad3f, v31
	v_add_f32_e32 v41, v43, v45
	v_fma_f32 v31, 0x3f62ad3f, v42, -v31
	v_add_f32_e32 v28, v28, v34
	v_fmamk_f32 v34, v42, 0xbeb58ec6, v39
	v_mul_f32_e32 v12, 0xbeb58ec6, v12
	v_add_f32_e32 v43, v9, v10
	v_fmac_f32_e32 v32, 0x3eedf032, v11
	v_add_f32_e32 v31, v31, v37
	v_sub_f32_e32 v37, v9, v10
	v_add_f32_e32 v34, v34, v36
	v_fmamk_f32 v36, v11, 0x3f6f5d39, v12
	v_fma_f32 v9, 0xbeb58ec6, v42, -v39
	v_fmac_f32_e32 v12, 0xbf6f5d39, v11
	v_sub_f32_e32 v39, v7, v8
	v_mul_f32_e32 v10, 0xbf788fa5, v43
	v_add_f32_e32 v35, v35, v38
	v_add_f32_e32 v32, v32, v40
	;; [unrolled: 1-line block ×3, first 2 shown]
	v_mul_f32_e32 v40, 0xbe750f2a, v37
	v_add_f32_e32 v42, v12, v14
	v_fmamk_f32 v8, v39, 0x3e750f2a, v10
	v_mul_f32_e32 v12, 0x3eedf032, v37
	v_mul_f32_e32 v14, 0x3f62ad3f, v43
	v_fmamk_f32 v7, v38, 0xbf788fa5, v40
	v_add_f32_e32 v33, v36, v33
	v_add_f32_e32 v36, v9, v13
	;; [unrolled: 1-line block ×3, first 2 shown]
	v_fmamk_f32 v11, v38, 0x3f62ad3f, v12
	v_fmamk_f32 v13, v39, 0xbeedf032, v14
	v_mul_f32_e32 v16, 0xbf29c268, v37
	v_add_f32_e32 v7, v7, v15
	v_fma_f32 v9, 0xbf788fa5, v38, -v40
	v_fmac_f32_e32 v10, 0xbe750f2a, v39
	v_add_f32_e32 v11, v11, v17
	v_fma_f32 v15, 0x3f62ad3f, v38, -v12
	v_add_f32_e32 v12, v13, v20
	v_fmamk_f32 v17, v38, 0xbf3f9e67, v16
	v_mul_f32_e32 v20, 0xbf3f9e67, v43
	v_add_f32_e32 v9, v9, v22
	v_add_f32_e32 v10, v10, v23
	v_fmac_f32_e32 v14, 0x3eedf032, v39
	v_add_f32_e32 v13, v15, v18
	v_mul_f32_e32 v22, 0x3f52af12, v37
	v_add_f32_e32 v15, v17, v24
	v_fmamk_f32 v17, v39, 0x3f29c268, v20
	v_fma_f32 v18, 0xbf3f9e67, v38, -v16
	v_fmac_f32_e32 v20, 0xbf29c268, v39
	v_mul_f32_e32 v23, 0x3f116cb1, v43
	v_add_f32_e32 v14, v14, v19
	v_fmamk_f32 v19, v38, 0x3f116cb1, v22
	v_add_f32_e32 v16, v17, v27
	v_add_f32_e32 v17, v18, v26
	;; [unrolled: 1-line block ×3, first 2 shown]
	v_fmamk_f32 v20, v39, 0xbf52af12, v23
	v_mul_f32_e32 v24, 0xbf6f5d39, v37
	v_mul_f32_e32 v26, 0xbeb58ec6, v43
	v_fma_f32 v22, 0x3f116cb1, v38, -v22
	v_fmac_f32_e32 v23, 0x3f52af12, v39
	v_add_f32_e32 v19, v19, v29
	v_add_f32_e32 v20, v20, v30
	v_fmamk_f32 v25, v39, 0x3f6f5d39, v26
	v_fma_f32 v27, 0xbeb58ec6, v38, -v24
	v_mul_f32_e32 v29, 0x3f7e222b, v37
	v_mul_f32_e32 v30, 0x3df6dbef, v43
	v_add_f32_e32 v21, v22, v21
	v_add_f32_e32 v22, v23, v41
	v_fmamk_f32 v23, v38, 0xbeb58ec6, v24
	v_add_f32_e32 v24, v25, v28
	v_add_f32_e32 v25, v27, v31
	v_fmamk_f32 v27, v38, 0x3df6dbef, v29
	v_fmamk_f32 v28, v39, 0xbf7e222b, v30
	v_fma_f32 v29, 0x3df6dbef, v38, -v29
	v_fmac_f32_e32 v30, 0x3f7e222b, v39
	v_fmac_f32_e32 v26, 0xbf6f5d39, v39
	v_add_f32_e32 v23, v23, v35
	v_add_f32_e32 v27, v27, v34
	;; [unrolled: 1-line block ×6, first 2 shown]
	ds_write2_b64 v127, v[0:1], v[7:8] offset1:156
	ds_write2_b64 v6, v[11:12], v[15:16] offset0:56 offset1:212
	ds_write2_b64 v5, v[19:20], v[23:24] offset0:48 offset1:204
	;; [unrolled: 1-line block ×5, first 2 shown]
	ds_write_b64 v127, v[9:10] offset:14976
	s_waitcnt lgkmcnt(0)
	s_barrier
	buffer_gl0_inv
	ds_read2_b64 v[7:10], v127 offset1:156
	ds_read2_b64 v[11:14], v6 offset0:56 offset1:212
	v_mad_u64_u32 v[15:16], null, s10, v90, 0
	v_mad_u64_u32 v[19:20], null, s8, v128, 0
	v_mov_b32_e32 v6, v16
	s_waitcnt lgkmcnt(1)
	v_mul_f32_e32 v0, v100, v8
	v_mul_f32_e32 v1, v100, v7
	;; [unrolled: 1-line block ×3, first 2 shown]
	s_waitcnt lgkmcnt(0)
	v_mul_f32_e32 v23, v110, v12
	v_mul_f32_e32 v24, v110, v11
	v_fmac_f32_e32 v0, v99, v7
	v_fma_f32 v7, v99, v8, -v1
	v_fma_f32 v16, v97, v10, -v16
	v_fmac_f32_e32 v23, v109, v11
	v_mul_f32_e32 v26, v108, v13
	v_cvt_f64_f32_e32 v[0:1], v0
	v_cvt_f64_f32_e32 v[7:8], v7
	;; [unrolled: 1-line block ×3, first 2 shown]
	v_mul_f64 v[0:1], v[0:1], s[0:1]
	v_mul_f64 v[17:18], v[7:8], s[0:1]
	v_mul_f32_e32 v8, v98, v10
	v_mad_u64_u32 v[6:7], null, s11, v90, v[6:7]
	v_mov_b32_e32 v7, v20
	v_fmac_f32_e32 v8, v97, v9
	v_mov_b32_e32 v16, v6
	v_cvt_f64_f32_e32 v[9:10], v8
	v_fma_f32 v8, v109, v12, -v24
	v_cvt_f64_f32_e32 v[11:12], v23
	v_lshlrev_b64 v[15:16], 3, v[15:16]
	v_mad_u64_u32 v[23:24], null, s9, v128, v[7:8]
	v_cvt_f64_f32_e32 v[24:25], v8
	ds_read2_b64 v[5:8], v5 offset0:48 offset1:204
	v_add_co_u32 v27, vcc_lo, s4, v15
	v_cvt_f32_f64_e32 v0, v[0:1]
	v_cvt_f32_f64_e32 v1, v[17:18]
	v_mov_b32_e32 v20, v23
	v_mul_f32_e32 v23, v108, v14
	v_add_co_ci_u32_e32 v28, vcc_lo, s5, v16, vcc_lo
	v_lshlrev_b64 v[15:16], 3, v[19:20]
	v_mul_f64 v[19:20], v[21:22], s[0:1]
	v_fmac_f32_e32 v23, v107, v13
	v_mul_f64 v[17:18], v[9:10], s[0:1]
	v_fma_f32 v9, v107, v14, -v26
	v_mul_f64 v[21:22], v[11:12], s[0:1]
	s_waitcnt lgkmcnt(0)
	v_mul_f32_e32 v11, v106, v5
	v_mul_f64 v[13:14], v[24:25], s[0:1]
	v_mul_f32_e32 v10, v106, v6
	v_cvt_f64_f32_e32 v[25:26], v9
	v_cvt_f64_f32_e32 v[23:24], v23
	v_fma_f32 v9, v105, v6, -v11
	v_fmac_f32_e32 v10, v105, v5
	v_add_co_u32 v5, vcc_lo, v27, v15
	v_add_co_ci_u32_e32 v6, vcc_lo, v28, v16, vcc_lo
	v_cvt_f64_f32_e32 v[27:28], v9
	v_cvt_f64_f32_e32 v[15:16], v10
	ds_read2_b64 v[9:12], v4 offset0:40 offset1:196
	global_store_dwordx2 v[5:6], v[0:1], off
	v_cvt_f32_f64_e32 v0, v[17:18]
	v_cvt_f32_f64_e32 v1, v[19:20]
	v_cvt_f32_f64_e32 v17, v[21:22]
	v_add_co_u32 v4, vcc_lo, v5, s3
	v_add_co_ci_u32_e32 v5, vcc_lo, s2, v6, vcc_lo
	v_cvt_f32_f64_e32 v18, v[13:14]
	v_mul_f32_e32 v6, v104, v7
	v_mul_f64 v[19:20], v[25:26], s[0:1]
	v_mul_f32_e32 v25, v104, v8
	v_mul_f64 v[13:14], v[23:24], s[0:1]
	v_add_co_u32 v23, vcc_lo, v4, s3
	v_add_co_ci_u32_e32 v24, vcc_lo, s2, v5, vcc_lo
	v_fmac_f32_e32 v25, v103, v7
	v_fma_f32 v6, v103, v8, -v6
	v_mul_f64 v[21:22], v[27:28], s[0:1]
	s_waitcnt lgkmcnt(0)
	v_mul_f32_e32 v7, v102, v10
	v_mul_f32_e32 v27, v102, v9
	v_cvt_f64_f32_e32 v[25:26], v25
	v_mul_f32_e32 v29, v96, v11
	global_store_dwordx2 v[4:5], v[0:1], off
	v_fmac_f32_e32 v7, v101, v9
	v_fma_f32 v8, v101, v10, -v27
	v_cvt_f64_f32_e32 v[0:1], v6
	ds_read2_b64 v[3:6], v3 offset0:96 offset1:252
	v_mul_f64 v[15:16], v[15:16], s[0:1]
	global_store_dwordx2 v[23:24], v[17:18], off
	v_cvt_f64_f32_e32 v[17:18], v7
	v_cvt_f64_f32_e32 v[27:28], v8
	ds_read2_b64 v[7:10], v2 offset0:24 offset1:180
	v_mul_f32_e32 v2, v96, v12
	v_fma_f32 v29, v95, v12, -v29
	v_cvt_f32_f64_e32 v13, v[13:14]
	v_cvt_f32_f64_e32 v14, v[19:20]
	v_add_co_u32 v19, vcc_lo, v23, s3
	v_fmac_f32_e32 v2, v95, v11
	v_add_co_ci_u32_e32 v20, vcc_lo, s2, v24, vcc_lo
	v_cvt_f64_f32_e32 v[29:30], v29
	v_mul_f64 v[23:24], v[25:26], s[0:1]
	v_cvt_f64_f32_e32 v[25:26], v2
	s_waitcnt lgkmcnt(1)
	v_mul_f32_e32 v33, v89, v5
	v_mul_f32_e32 v32, v89, v6
	;; [unrolled: 1-line block ×4, first 2 shown]
	v_mul_f64 v[0:1], v[0:1], s[0:1]
	v_mul_f64 v[11:12], v[17:18], s[0:1]
	;; [unrolled: 1-line block ×3, first 2 shown]
	ds_read_b64 v[27:28], v127 offset:14976
	v_fma_f32 v6, v88, v6, -v33
	s_waitcnt lgkmcnt(1)
	v_mul_f32_e32 v35, v85, v8
	v_mul_f32_e32 v37, v92, v10
	v_fmac_f32_e32 v2, v86, v3
	v_fma_f32 v4, v86, v4, -v31
	v_cvt_f64_f32_e32 v[33:34], v6
	v_mul_f32_e32 v6, v85, v7
	v_fmac_f32_e32 v35, v84, v7
	v_mul_f32_e32 v7, v92, v9
	v_cvt_f32_f64_e32 v15, v[15:16]
	v_cvt_f32_f64_e32 v16, v[21:22]
	v_fmac_f32_e32 v32, v88, v5
	v_fma_f32 v6, v84, v8, -v6
	v_fmac_f32_e32 v37, v91, v9
	v_fma_f32 v10, v91, v10, -v7
	v_cvt_f64_f32_e32 v[2:3], v2
	v_cvt_f64_f32_e32 v[4:5], v4
	;; [unrolled: 1-line block ×4, first 2 shown]
	s_waitcnt lgkmcnt(0)
	v_mul_f32_e32 v38, v94, v28
	v_mul_f32_e32 v39, v94, v27
	v_cvt_f64_f32_e32 v[6:7], v6
	v_cvt_f64_f32_e32 v[8:9], v37
	v_add_co_u32 v21, vcc_lo, v19, s3
	v_fmac_f32_e32 v38, v93, v27
	v_fma_f32 v39, v93, v28, -v39
	v_cvt_f64_f32_e32 v[27:28], v10
	v_add_co_ci_u32_e32 v22, vcc_lo, s2, v20, vcc_lo
	v_cvt_f64_f32_e32 v[37:38], v38
	v_cvt_f64_f32_e32 v[39:40], v39
	global_store_dwordx2 v[19:20], v[13:14], off
	global_store_dwordx2 v[21:22], v[15:16], off
	v_cvt_f32_f64_e32 v14, v[0:1]
	v_mul_f64 v[0:1], v[25:26], s[0:1]
	v_mul_f64 v[15:16], v[29:30], s[0:1]
	v_add_co_u32 v19, vcc_lo, v21, s3
	v_mul_f64 v[2:3], v[2:3], s[0:1]
	v_mul_f64 v[4:5], v[4:5], s[0:1]
	v_add_co_ci_u32_e32 v20, vcc_lo, s2, v22, vcc_lo
	v_cvt_f32_f64_e32 v10, v[11:12]
	v_cvt_f32_f64_e32 v11, v[17:18]
	v_mul_f64 v[17:18], v[31:32], s[0:1]
	v_mul_f64 v[21:22], v[33:34], s[0:1]
	v_cvt_f32_f64_e32 v13, v[23:24]
	v_mul_f64 v[23:24], v[35:36], s[0:1]
	v_mul_f64 v[6:7], v[6:7], s[0:1]
	;; [unrolled: 1-line block ×4, first 2 shown]
	v_add_co_u32 v31, vcc_lo, v19, s3
	v_mul_f64 v[27:28], v[37:38], s[0:1]
	v_mul_f64 v[29:30], v[39:40], s[0:1]
	v_add_co_ci_u32_e32 v32, vcc_lo, s2, v20, vcc_lo
	v_cvt_f32_f64_e32 v0, v[0:1]
	v_cvt_f32_f64_e32 v1, v[15:16]
	v_add_co_u32 v15, vcc_lo, v31, s3
	v_add_co_ci_u32_e32 v16, vcc_lo, s2, v32, vcc_lo
	v_cvt_f32_f64_e32 v2, v[2:3]
	v_cvt_f32_f64_e32 v3, v[4:5]
	v_add_co_u32 v4, vcc_lo, v15, s3
	v_add_co_ci_u32_e32 v5, vcc_lo, s2, v16, vcc_lo
	v_cvt_f32_f64_e32 v17, v[17:18]
	v_cvt_f32_f64_e32 v18, v[21:22]
	;; [unrolled: 1-line block ×8, first 2 shown]
	v_add_co_u32 v23, vcc_lo, v4, s3
	v_add_co_ci_u32_e32 v24, vcc_lo, s2, v5, vcc_lo
	global_store_dwordx2 v[19:20], v[13:14], off
	v_add_co_u32 v12, vcc_lo, v23, s3
	v_add_co_ci_u32_e32 v13, vcc_lo, s2, v24, vcc_lo
	global_store_dwordx2 v[31:32], v[10:11], off
	;; [unrolled: 3-line block ×4, first 2 shown]
	global_store_dwordx2 v[23:24], v[17:18], off
	global_store_dwordx2 v[12:13], v[21:22], off
	;; [unrolled: 1-line block ×4, first 2 shown]
.LBB0_18:
	s_endpgm
	.section	.rodata,"a",@progbits
	.p2align	6, 0x0
	.amdhsa_kernel bluestein_single_back_len2028_dim1_sp_op_CI_CI
		.amdhsa_group_segment_fixed_size 16224
		.amdhsa_private_segment_fixed_size 0
		.amdhsa_kernarg_size 104
		.amdhsa_user_sgpr_count 6
		.amdhsa_user_sgpr_private_segment_buffer 1
		.amdhsa_user_sgpr_dispatch_ptr 0
		.amdhsa_user_sgpr_queue_ptr 0
		.amdhsa_user_sgpr_kernarg_segment_ptr 1
		.amdhsa_user_sgpr_dispatch_id 0
		.amdhsa_user_sgpr_flat_scratch_init 0
		.amdhsa_user_sgpr_private_segment_size 0
		.amdhsa_wavefront_size32 1
		.amdhsa_uses_dynamic_stack 0
		.amdhsa_system_sgpr_private_segment_wavefront_offset 0
		.amdhsa_system_sgpr_workgroup_id_x 1
		.amdhsa_system_sgpr_workgroup_id_y 0
		.amdhsa_system_sgpr_workgroup_id_z 0
		.amdhsa_system_sgpr_workgroup_info 0
		.amdhsa_system_vgpr_workitem_id 0
		.amdhsa_next_free_vgpr 202
		.amdhsa_next_free_sgpr 20
		.amdhsa_reserve_vcc 1
		.amdhsa_reserve_flat_scratch 0
		.amdhsa_float_round_mode_32 0
		.amdhsa_float_round_mode_16_64 0
		.amdhsa_float_denorm_mode_32 3
		.amdhsa_float_denorm_mode_16_64 3
		.amdhsa_dx10_clamp 1
		.amdhsa_ieee_mode 1
		.amdhsa_fp16_overflow 0
		.amdhsa_workgroup_processor_mode 1
		.amdhsa_memory_ordered 1
		.amdhsa_forward_progress 0
		.amdhsa_shared_vgpr_count 0
		.amdhsa_exception_fp_ieee_invalid_op 0
		.amdhsa_exception_fp_denorm_src 0
		.amdhsa_exception_fp_ieee_div_zero 0
		.amdhsa_exception_fp_ieee_overflow 0
		.amdhsa_exception_fp_ieee_underflow 0
		.amdhsa_exception_fp_ieee_inexact 0
		.amdhsa_exception_int_div_zero 0
	.end_amdhsa_kernel
	.text
.Lfunc_end0:
	.size	bluestein_single_back_len2028_dim1_sp_op_CI_CI, .Lfunc_end0-bluestein_single_back_len2028_dim1_sp_op_CI_CI
                                        ; -- End function
	.section	.AMDGPU.csdata,"",@progbits
; Kernel info:
; codeLenInByte = 19500
; NumSgprs: 22
; NumVgprs: 202
; ScratchSize: 0
; MemoryBound: 0
; FloatMode: 240
; IeeeMode: 1
; LDSByteSize: 16224 bytes/workgroup (compile time only)
; SGPRBlocks: 2
; VGPRBlocks: 25
; NumSGPRsForWavesPerEU: 22
; NumVGPRsForWavesPerEU: 202
; Occupancy: 4
; WaveLimiterHint : 1
; COMPUTE_PGM_RSRC2:SCRATCH_EN: 0
; COMPUTE_PGM_RSRC2:USER_SGPR: 6
; COMPUTE_PGM_RSRC2:TRAP_HANDLER: 0
; COMPUTE_PGM_RSRC2:TGID_X_EN: 1
; COMPUTE_PGM_RSRC2:TGID_Y_EN: 0
; COMPUTE_PGM_RSRC2:TGID_Z_EN: 0
; COMPUTE_PGM_RSRC2:TIDIG_COMP_CNT: 0
	.text
	.p2alignl 6, 3214868480
	.fill 48, 4, 3214868480
	.type	__hip_cuid_cf88286d7a198525,@object ; @__hip_cuid_cf88286d7a198525
	.section	.bss,"aw",@nobits
	.globl	__hip_cuid_cf88286d7a198525
__hip_cuid_cf88286d7a198525:
	.byte	0                               ; 0x0
	.size	__hip_cuid_cf88286d7a198525, 1

	.ident	"AMD clang version 19.0.0git (https://github.com/RadeonOpenCompute/llvm-project roc-6.4.0 25133 c7fe45cf4b819c5991fe208aaa96edf142730f1d)"
	.section	".note.GNU-stack","",@progbits
	.addrsig
	.addrsig_sym __hip_cuid_cf88286d7a198525
	.amdgpu_metadata
---
amdhsa.kernels:
  - .args:
      - .actual_access:  read_only
        .address_space:  global
        .offset:         0
        .size:           8
        .value_kind:     global_buffer
      - .actual_access:  read_only
        .address_space:  global
        .offset:         8
        .size:           8
        .value_kind:     global_buffer
      - .actual_access:  read_only
        .address_space:  global
        .offset:         16
        .size:           8
        .value_kind:     global_buffer
      - .actual_access:  read_only
        .address_space:  global
        .offset:         24
        .size:           8
        .value_kind:     global_buffer
      - .actual_access:  read_only
        .address_space:  global
        .offset:         32
        .size:           8
        .value_kind:     global_buffer
      - .offset:         40
        .size:           8
        .value_kind:     by_value
      - .address_space:  global
        .offset:         48
        .size:           8
        .value_kind:     global_buffer
      - .address_space:  global
        .offset:         56
        .size:           8
        .value_kind:     global_buffer
      - .address_space:  global
        .offset:         64
        .size:           8
        .value_kind:     global_buffer
      - .address_space:  global
        .offset:         72
        .size:           8
        .value_kind:     global_buffer
      - .offset:         80
        .size:           4
        .value_kind:     by_value
      - .address_space:  global
        .offset:         88
        .size:           8
        .value_kind:     global_buffer
      - .address_space:  global
        .offset:         96
        .size:           8
        .value_kind:     global_buffer
    .group_segment_fixed_size: 16224
    .kernarg_segment_align: 8
    .kernarg_segment_size: 104
    .language:       OpenCL C
    .language_version:
      - 2
      - 0
    .max_flat_workgroup_size: 156
    .name:           bluestein_single_back_len2028_dim1_sp_op_CI_CI
    .private_segment_fixed_size: 0
    .sgpr_count:     22
    .sgpr_spill_count: 0
    .symbol:         bluestein_single_back_len2028_dim1_sp_op_CI_CI.kd
    .uniform_work_group_size: 1
    .uses_dynamic_stack: false
    .vgpr_count:     202
    .vgpr_spill_count: 0
    .wavefront_size: 32
    .workgroup_processor_mode: 1
amdhsa.target:   amdgcn-amd-amdhsa--gfx1030
amdhsa.version:
  - 1
  - 2
...

	.end_amdgpu_metadata
